;; amdgpu-corpus repo=ROCm/rocFFT kind=compiled arch=gfx1100 opt=O3
	.text
	.amdgcn_target "amdgcn-amd-amdhsa--gfx1100"
	.amdhsa_code_object_version 6
	.protected	bluestein_single_fwd_len1728_dim1_sp_op_CI_CI ; -- Begin function bluestein_single_fwd_len1728_dim1_sp_op_CI_CI
	.globl	bluestein_single_fwd_len1728_dim1_sp_op_CI_CI
	.p2align	8
	.type	bluestein_single_fwd_len1728_dim1_sp_op_CI_CI,@function
bluestein_single_fwd_len1728_dim1_sp_op_CI_CI: ; @bluestein_single_fwd_len1728_dim1_sp_op_CI_CI
; %bb.0:
	s_load_b128 s[8:11], s[0:1], 0x28
	v_mul_u32_u24_e32 v1, 0x25f, v0
	s_mov_b32 s2, exec_lo
	v_mov_b32_e32 v117, 0
	s_delay_alu instid0(VALU_DEP_2) | instskip(NEXT) | instid1(VALU_DEP_1)
	v_lshrrev_b32_e32 v1, 16, v1
	v_add_nc_u32_e32 v116, s15, v1
	s_waitcnt lgkmcnt(0)
	s_delay_alu instid0(VALU_DEP_1)
	v_cmpx_gt_u64_e64 s[8:9], v[116:117]
	s_cbranch_execz .LBB0_31
; %bb.1:
	s_clause 0x1
	s_load_b128 s[4:7], s[0:1], 0x18
	s_load_b64 s[16:17], s[0:1], 0x0
	v_mul_lo_u16 v1, 0x6c, v1
	s_delay_alu instid0(VALU_DEP_1) | instskip(NEXT) | instid1(VALU_DEP_1)
	v_sub_nc_u16 v40, v0, v1
	v_and_b32_e32 v164, 0xffff, v40
	s_delay_alu instid0(VALU_DEP_1) | instskip(SKIP_2) | instid1(VALU_DEP_1)
	v_lshlrev_b32_e32 v163, 3, v164
	s_waitcnt lgkmcnt(0)
	s_load_b128 s[12:15], s[4:5], 0x0
	v_add_co_u32 v2, s2, s16, v163
	s_delay_alu instid0(VALU_DEP_1) | instskip(NEXT) | instid1(VALU_DEP_2)
	v_add_co_ci_u32_e64 v3, null, s17, 0, s2
	v_add_co_u32 v112, vcc_lo, 0x1000, v2
	s_delay_alu instid0(VALU_DEP_2)
	v_add_co_ci_u32_e32 v113, vcc_lo, 0, v3, vcc_lo
	v_add_co_u32 v108, vcc_lo, 0x2000, v2
	v_add_co_ci_u32_e32 v109, vcc_lo, 0, v3, vcc_lo
	v_add_co_u32 v110, vcc_lo, 0x3000, v2
	v_add_co_ci_u32_e32 v111, vcc_lo, 0, v3, vcc_lo
	s_waitcnt lgkmcnt(0)
	v_mad_u64_u32 v[0:1], null, s14, v116, 0
	v_mad_u64_u32 v[2:3], null, s12, v164, 0
	s_mul_i32 s3, s13, 0x240
	s_mul_hi_u32 s4, s12, 0x240
	s_mul_i32 s2, s12, 0x240
	s_add_i32 s3, s4, s3
	s_mul_i32 s5, s13, 0xfffff160
	s_mul_hi_u32 s9, s12, 0xfffffbec
	s_delay_alu instid0(VALU_DEP_1) | instskip(SKIP_2) | instid1(VALU_DEP_1)
	v_mad_u64_u32 v[4:5], null, s15, v116, v[1:2]
	s_sub_i32 s4, s5, s12
	s_mul_i32 s8, s13, 0xfffffbec
	v_mov_b32_e32 v1, v4
	v_or_b32_e32 v165, 0x480, v164
	v_mad_u64_u32 v[7:8], null, s13, v164, v[3:4]
	s_delay_alu instid0(VALU_DEP_3) | instskip(NEXT) | instid1(VALU_DEP_3)
	v_lshlrev_b64 v[0:1], 3, v[0:1]
	v_mad_u64_u32 v[5:6], null, s12, v165, 0
	s_delay_alu instid0(VALU_DEP_3) | instskip(NEXT) | instid1(VALU_DEP_3)
	v_dual_mov_b32 v3, v7 :: v_dual_lshlrev_b32 v86, 3, v165
	v_add_co_u32 v8, vcc_lo, s10, v0
	s_delay_alu instid0(VALU_DEP_4) | instskip(NEXT) | instid1(VALU_DEP_4)
	v_add_co_ci_u32_e32 v9, vcc_lo, s11, v1, vcc_lo
	v_mov_b32_e32 v4, v6
	s_delay_alu instid0(VALU_DEP_4)
	v_lshlrev_b64 v[2:3], 3, v[2:3]
	s_lshl_b64 s[10:11], s[2:3], 3
	s_clause 0x5
	global_load_b64 v[137:138], v163, s[16:17]
	global_load_b64 v[133:134], v163, s[16:17] offset:864
	global_load_b64 v[123:124], v163, s[16:17] offset:1728
	;; [unrolled: 1-line block ×4, first 2 shown]
	global_load_b64 v[141:142], v86, s[16:17]
	v_mad_u64_u32 v[6:7], null, s13, v165, v[4:5]
	v_add_co_u32 v0, vcc_lo, v8, v2
	v_add_co_ci_u32_e32 v1, vcc_lo, v9, v3, vcc_lo
	s_clause 0x6
	global_load_b64 v[143:144], v[112:113], off offset:512
	global_load_b64 v[139:140], v[112:113], off offset:1376
	;; [unrolled: 1-line block ×7, first 2 shown]
	v_add_co_u32 v2, vcc_lo, v0, s10
	v_lshlrev_b64 v[4:5], 3, v[5:6]
	v_add_co_ci_u32_e32 v3, vcc_lo, s11, v1, vcc_lo
	s_sub_i32 s3, s9, s12
	s_mul_i32 s2, s12, 0xfffffbec
	s_add_i32 s3, s3, s8
	s_delay_alu instid0(VALU_DEP_2)
	v_add_co_u32 v4, vcc_lo, v8, v4
	v_add_co_ci_u32_e32 v5, vcc_lo, v9, v5, vcc_lo
	global_load_b64 v[8:9], v[0:1], off
	v_mad_u64_u32 v[6:7], null, 0xfffff160, s12, v[2:3]
	s_clause 0x1
	global_load_b64 v[2:3], v[2:3], off
	global_load_b64 v[10:11], v[4:5], off
	s_lshl_b64 s[2:3], s[2:3], 3
	v_add_nc_u32_e32 v41, 0x2400, v163
	v_add_nc_u32_e32 v7, s4, v7
	v_add_co_u32 v0, vcc_lo, v6, s10
	s_waitcnt vmcnt(2)
	v_mul_f32_e32 v42, v8, v138
	s_delay_alu instid0(VALU_DEP_3) | instskip(NEXT) | instid1(VALU_DEP_3)
	v_add_co_ci_u32_e32 v1, vcc_lo, s11, v7, vcc_lo
	v_add_co_u32 v4, vcc_lo, v0, s10
	global_load_b64 v[12:13], v[6:7], off
	v_add_co_ci_u32_e32 v5, vcc_lo, s11, v1, vcc_lo
	v_add_co_u32 v6, vcc_lo, v4, s2
	s_clause 0x1
	global_load_b64 v[14:15], v[0:1], off
	global_load_b64 v[16:17], v[4:5], off
	v_add_co_ci_u32_e32 v7, vcc_lo, s3, v5, vcc_lo
	v_add_co_u32 v0, vcc_lo, v6, s10
	s_waitcnt vmcnt(3)
	v_mul_f32_e32 v38, v11, v142
	s_delay_alu instid0(VALU_DEP_3) | instskip(NEXT) | instid1(VALU_DEP_3)
	v_add_co_ci_u32_e32 v1, vcc_lo, s11, v7, vcc_lo
	v_add_co_u32 v4, vcc_lo, v0, s10
	global_load_b64 v[18:19], v[6:7], off
	v_add_co_ci_u32_e32 v5, vcc_lo, s11, v1, vcc_lo
	global_load_b64 v[20:21], v[0:1], off
	v_add_co_u32 v0, vcc_lo, v4, s2
	v_add_co_ci_u32_e32 v1, vcc_lo, s3, v5, vcc_lo
	global_load_b64 v[22:23], v[4:5], off
	v_add_co_u32 v4, vcc_lo, v0, s10
	;; [unrolled: 3-line block ×6, first 2 shown]
	v_add_co_ci_u32_e32 v1, vcc_lo, s11, v7, vcc_lo
	global_load_b64 v[125:126], v[112:113], off offset:3968
	global_load_b64 v[32:33], v[6:7], off
	global_load_b64 v[127:128], v[110:111], off offset:384
	global_load_b64 v[34:35], v[0:1], off
	v_dual_mul_f32 v36, v3, v144 :: v_dual_add_nc_u32 v5, 0x1400, v163
	v_dual_mul_f32 v7, v9, v138 :: v_dual_add_nc_u32 v6, 0x400, v163
	;; [unrolled: 1-line block ×3, first 2 shown]
	s_delay_alu instid0(VALU_DEP_3) | instskip(SKIP_1) | instid1(VALU_DEP_4)
	v_fmac_f32_e32 v36, v2, v143
	v_fmac_f32_e32 v38, v10, v141
	;; [unrolled: 1-line block ×3, first 2 shown]
	v_fma_f32 v8, v9, v137, -v42
	v_fma_f32 v37, v3, v143, -v37
	s_load_b64 s[8:9], s[0:1], 0x38
	s_load_b128 s[4:7], s[6:7], 0x0
	v_cmp_gt_u16_e32 vcc_lo, 36, v40
	s_waitcnt vmcnt(13)
	v_mul_f32_e32 v2, v13, v134
	v_mul_f32_e32 v3, v12, v134
	s_waitcnt vmcnt(12)
	v_mul_f32_e32 v9, v15, v140
	s_delay_alu instid0(VALU_DEP_3) | instskip(NEXT) | instid1(VALU_DEP_3)
	v_dual_mul_f32 v39, v10, v142 :: v_dual_fmac_f32 v2, v12, v133
	v_fma_f32 v3, v13, v133, -v3
	s_waitcnt vmcnt(11)
	s_delay_alu instid0(VALU_DEP_3) | instskip(NEXT) | instid1(VALU_DEP_3)
	v_dual_mul_f32 v12, v16, v136 :: v_dual_fmac_f32 v9, v14, v139
	v_fma_f32 v39, v11, v141, -v39
	ds_store_b64 v163, v[36:37] offset:4608
	ds_store_b64 v163, v[38:39] offset:9216
	v_mul_f32_e32 v11, v17, v136
	ds_store_2addr_b64 v163, v[7:8], v[2:3] offset1:108
	s_waitcnt vmcnt(9)
	v_dual_mul_f32 v2, v19, v124 :: v_dual_mul_f32 v7, v21, v130
	v_mul_f32_e32 v8, v20, v130
	v_dual_mul_f32 v10, v14, v140 :: v_dual_fmac_f32 v11, v16, v135
	v_fma_f32 v12, v17, v135, -v12
	s_waitcnt vmcnt(8)
	v_dual_mul_f32 v13, v23, v132 :: v_dual_fmac_f32 v2, v18, v123
	v_dual_mul_f32 v14, v22, v132 :: v_dual_fmac_f32 v7, v20, v129
	v_fma_f32 v10, v15, v139, -v10
	v_fma_f32 v8, v21, v129, -v8
	s_delay_alu instid0(VALU_DEP_4) | instskip(NEXT) | instid1(VALU_DEP_4)
	v_fmac_f32_e32 v13, v22, v131
	v_fma_f32 v14, v23, v131, -v14
	s_waitcnt vmcnt(7)
	v_mul_f32_e32 v15, v25, v122
	v_dual_mul_f32 v3, v18, v124 :: v_dual_mul_f32 v16, v24, v122
	ds_store_2addr_b64 v5, v[9:10], v[7:8] offset0:44 offset1:152
	ds_store_2addr_b64 v41, v[11:12], v[13:14] offset0:108 offset1:216
	s_waitcnt vmcnt(6)
	v_mul_f32_e32 v7, v27, v118
	v_mul_f32_e32 v8, v26, v118
	v_fma_f32 v3, v19, v123, -v3
	s_waitcnt vmcnt(5)
	v_mul_f32_e32 v9, v29, v120
	v_mul_f32_e32 v10, v28, v120
	v_fma_f32 v16, v25, v121, -v16
	v_fma_f32 v8, v27, v117, -v8
	v_add_nc_u32_e32 v19, 0x2c00, v163
	s_waitcnt vmcnt(4)
	v_mul_f32_e32 v11, v31, v115
	v_dual_mul_f32 v12, v30, v115 :: v_dual_fmac_f32 v15, v24, v121
	s_waitcnt vmcnt(2)
	v_mul_f32_e32 v13, v33, v126
	s_waitcnt vmcnt(0)
	v_dual_mul_f32 v14, v32, v126 :: v_dual_mul_f32 v17, v35, v128
	v_mul_f32_e32 v18, v34, v128
	v_fmac_f32_e32 v11, v30, v114
	v_fma_f32 v12, v31, v114, -v12
	v_fmac_f32_e32 v7, v26, v117
	v_fmac_f32_e32 v13, v32, v125
	v_fma_f32 v14, v33, v125, -v14
	v_fmac_f32_e32 v9, v28, v119
	v_fma_f32 v10, v29, v119, -v10
	;; [unrolled: 2-line block ×3, first 2 shown]
	ds_store_2addr_b64 v6, v[2:3], v[15:16] offset0:88 offset1:196
	ds_store_b64 v163, v[11:12] offset:3456
	ds_store_2addr_b64 v4, v[7:8], v[13:14] offset0:132 offset1:240
	ds_store_2addr_b64 v19, v[9:10], v[17:18] offset0:68 offset1:176
	s_and_saveexec_b32 s12, vcc_lo
	s_cbranch_execz .LBB0_3
; %bb.2:
	v_add_co_u32 v0, s2, v0, s2
	s_delay_alu instid0(VALU_DEP_1) | instskip(SKIP_3) | instid1(VALU_DEP_1)
	v_add_co_ci_u32_e64 v1, s2, s3, v1, s2
	global_load_b64 v[7:8], v[112:113], off offset:224
	global_load_b64 v[2:3], v[0:1], off
	v_add_co_u32 v0, s2, v0, s10
	v_add_co_ci_u32_e64 v1, s2, s11, v1, s2
	v_add_nc_u32_e32 v17, 0xe0, v163
	s_delay_alu instid0(VALU_DEP_3) | instskip(NEXT) | instid1(VALU_DEP_1)
	v_add_co_u32 v9, s2, v0, s10
	v_add_co_ci_u32_e64 v10, s2, s11, v1, s2
	global_load_b64 v[0:1], v[0:1], off
	s_clause 0x1
	global_load_b64 v[11:12], v[108:109], off offset:736
	global_load_b64 v[13:14], v[110:111], off offset:1248
	global_load_b64 v[9:10], v[9:10], off
	s_waitcnt vmcnt(4)
	v_mul_f32_e32 v16, v2, v8
	v_mul_f32_e32 v15, v3, v8
	s_delay_alu instid0(VALU_DEP_2) | instskip(SKIP_2) | instid1(VALU_DEP_3)
	v_fma_f32 v16, v3, v7, -v16
	s_waitcnt vmcnt(0)
	v_mul_f32_e32 v8, v10, v14
	v_dual_fmac_f32 v15, v2, v7 :: v_dual_mul_f32 v2, v1, v12
	v_mul_f32_e32 v12, v0, v12
	v_mul_f32_e32 v14, v9, v14
	s_delay_alu instid0(VALU_DEP_4) | instskip(NEXT) | instid1(VALU_DEP_4)
	v_fmac_f32_e32 v8, v9, v13
	v_fmac_f32_e32 v2, v0, v11
	s_delay_alu instid0(VALU_DEP_4) | instskip(NEXT) | instid1(VALU_DEP_4)
	v_fma_f32 v3, v1, v11, -v12
	v_fma_f32 v9, v10, v13, -v14
	ds_store_2addr_stride64_b64 v17, v[15:16], v[2:3] offset0:8 offset1:17
	ds_store_b64 v163, v[8:9] offset:13536
.LBB0_3:
	s_or_b32 exec_lo, exec_lo, s12
	v_add_nc_u32_e32 v0, 0xc00, v163
	v_add_nc_u32_e32 v7, 0x2000, v163
	;; [unrolled: 1-line block ×3, first 2 shown]
	s_waitcnt lgkmcnt(0)
	s_barrier
	buffer_gl0_inv
	ds_load_2addr_b64 v[12:15], v163 offset1:108
	ds_load_2addr_b64 v[0:3], v0 offset0:48 offset1:192
	ds_load_2addr_b64 v[28:31], v7 offset0:128 offset1:236
	;; [unrolled: 1-line block ×6, first 2 shown]
	ds_load_b64 v[34:35], v163 offset:12672
                                        ; implicit-def: $vgpr4
                                        ; implicit-def: $vgpr32
	s_and_saveexec_b32 s2, vcc_lo
	s_cbranch_execz .LBB0_5
; %bb.4:
	v_add_nc_u32_e32 v4, 0xe0, v163
	ds_load_2addr_stride64_b64 v[4:7], v4 offset0:8 offset1:17
	ds_load_b64 v[32:33], v163 offset:13536
.LBB0_5:
	s_or_b32 exec_lo, exec_lo, s2
	s_load_b64 s[2:3], s[0:1], 0x8
	v_add_co_u32 v84, s0, 0x6c, v164
	s_delay_alu instid0(VALU_DEP_1)
	v_add_co_ci_u32_e64 v36, null, 0, 0, s0
	s_waitcnt lgkmcnt(0)
	v_dual_add_f32 v38, v3, v29 :: v_dual_add_nc_u32 v41, 0x1b0, v164
	v_dual_add_f32 v36, v2, v28 :: v_dual_sub_f32 v39, v3, v29
	v_dual_add_f32 v37, v12, v2 :: v_dual_add_nc_u32 v40, 0x144, v164
	v_dual_add_f32 v3, v13, v3 :: v_dual_sub_f32 v2, v2, v28
	s_delay_alu instid0(VALU_DEP_3) | instskip(SKIP_1) | instid1(VALU_DEP_3)
	v_fma_f32 v12, -0.5, v36, v12
	v_fma_f32 v13, -0.5, v38, v13
	v_dual_add_f32 v36, v37, v28 :: v_dual_add_f32 v37, v3, v29
	s_delay_alu instid0(VALU_DEP_3) | instskip(NEXT) | instid1(VALU_DEP_3)
	v_dual_add_f32 v3, v24, v30 :: v_dual_fmamk_f32 v28, v39, 0x3f5db3d7, v12
	v_dual_fmac_f32 v12, 0xbf5db3d7, v39 :: v_dual_fmamk_f32 v29, v2, 0xbf5db3d7, v13
	v_dual_add_f32 v38, v14, v24 :: v_dual_fmac_f32 v13, 0x3f5db3d7, v2
	v_add_f32_e32 v2, v25, v31
	s_delay_alu instid0(VALU_DEP_4) | instskip(NEXT) | instid1(VALU_DEP_3)
	v_fma_f32 v14, -0.5, v3, v14
	v_dual_sub_f32 v3, v25, v31 :: v_dual_add_f32 v38, v38, v30
	v_add_f32_e32 v25, v15, v25
	s_delay_alu instid0(VALU_DEP_4) | instskip(SKIP_1) | instid1(VALU_DEP_4)
	v_fmac_f32_e32 v15, -0.5, v2
	v_sub_f32_e32 v2, v24, v30
	v_fmamk_f32 v24, v3, 0x3f5db3d7, v14
	v_dual_fmac_f32 v14, 0xbf5db3d7, v3 :: v_dual_add_f32 v3, v26, v20
	v_add_f32_e32 v39, v25, v31
	s_delay_alu instid0(VALU_DEP_4) | instskip(SKIP_1) | instid1(VALU_DEP_4)
	v_dual_fmamk_f32 v25, v2, 0xbf5db3d7, v15 :: v_dual_add_f32 v30, v8, v26
	v_dual_fmac_f32 v15, 0x3f5db3d7, v2 :: v_dual_add_f32 v2, v27, v21
	v_fma_f32 v8, -0.5, v3, v8
	s_delay_alu instid0(VALU_DEP_3) | instskip(SKIP_1) | instid1(VALU_DEP_4)
	v_dual_sub_f32 v3, v27, v21 :: v_dual_add_f32 v30, v30, v20
	v_add_f32_e32 v27, v9, v27
	v_fma_f32 v9, -0.5, v2, v9
	v_sub_f32_e32 v2, v26, v20
	s_delay_alu instid0(VALU_DEP_4) | instskip(NEXT) | instid1(VALU_DEP_4)
	v_fmamk_f32 v20, v3, 0x3f5db3d7, v8
	v_dual_fmac_f32 v8, 0xbf5db3d7, v3 :: v_dual_add_f32 v31, v27, v21
	v_add_f32_e32 v3, v16, v22
	s_delay_alu instid0(VALU_DEP_4) | instskip(SKIP_2) | instid1(VALU_DEP_4)
	v_fmamk_f32 v21, v2, 0xbf5db3d7, v9
	v_dual_add_f32 v26, v10, v16 :: v_dual_fmac_f32 v9, 0x3f5db3d7, v2
	v_add_f32_e32 v2, v17, v23
	v_fma_f32 v10, -0.5, v3, v10
	s_delay_alu instid0(VALU_DEP_3) | instskip(SKIP_1) | instid1(VALU_DEP_4)
	v_dual_sub_f32 v3, v17, v23 :: v_dual_add_f32 v26, v26, v22
	v_add_f32_e32 v17, v11, v17
	v_fmac_f32_e32 v11, -0.5, v2
	v_sub_f32_e32 v2, v16, v22
	s_delay_alu instid0(VALU_DEP_4) | instskip(NEXT) | instid1(VALU_DEP_4)
	v_fmamk_f32 v16, v3, 0x3f5db3d7, v10
	v_dual_add_f32 v22, v18, v34 :: v_dual_add_f32 v27, v17, v23
	s_delay_alu instid0(VALU_DEP_3) | instskip(SKIP_1) | instid1(VALU_DEP_3)
	v_dual_fmac_f32 v10, 0xbf5db3d7, v3 :: v_dual_fmamk_f32 v17, v2, 0xbf5db3d7, v11
	v_add_f32_e32 v3, v0, v18
	v_fma_f32 v0, -0.5, v22, v0
	v_sub_f32_e32 v22, v19, v35
	v_add_f32_e32 v23, v19, v35
	v_fmac_f32_e32 v11, 0x3f5db3d7, v2
	v_dual_add_f32 v2, v3, v34 :: v_dual_add_f32 v3, v1, v19
	s_delay_alu instid0(VALU_DEP_3) | instskip(SKIP_1) | instid1(VALU_DEP_3)
	v_dual_fmamk_f32 v56, v22, 0x3f5db3d7, v0 :: v_dual_fmac_f32 v1, -0.5, v23
	v_sub_f32_e32 v18, v18, v34
	v_dual_fmac_f32 v0, 0xbf5db3d7, v22 :: v_dual_add_f32 v3, v3, v35
	v_dual_add_f32 v19, v4, v6 :: v_dual_add_f32 v22, v6, v32
	s_delay_alu instid0(VALU_DEP_3) | instskip(SKIP_1) | instid1(VALU_DEP_3)
	v_fmamk_f32 v57, v18, 0xbf5db3d7, v1
	v_dual_fmac_f32 v1, 0x3f5db3d7, v18 :: v_dual_add_f32 v18, v7, v33
	v_add_f32_e32 v58, v19, v32
	s_delay_alu instid0(VALU_DEP_4) | instskip(SKIP_1) | instid1(VALU_DEP_4)
	v_dual_fmac_f32 v4, -0.5, v22 :: v_dual_sub_f32 v19, v7, v33
	v_add_f32_e32 v7, v5, v7
	v_fmac_f32_e32 v5, -0.5, v18
	v_mul_lo_u16 v18, v164, 3
	v_sub_f32_e32 v22, v6, v32
	v_fmamk_f32 v6, v19, 0x3f5db3d7, v4
	v_dual_fmac_f32 v4, 0xbf5db3d7, v19 :: v_dual_add_f32 v59, v7, v33
	s_delay_alu instid0(VALU_DEP_4) | instskip(SKIP_3) | instid1(VALU_DEP_4)
	v_and_b32_e32 v18, 0xffff, v18
	v_add_co_u32 v85, null, 0xd8, v164
	v_fmamk_f32 v7, v22, 0xbf5db3d7, v5
	v_add_co_u32 v42, null, 0x21c, v164
	v_lshlrev_b32_e32 v170, 3, v18
	v_mul_u32_u24_e32 v19, 3, v84
	s_barrier
	buffer_gl0_inv
	v_mul_u32_u24_e32 v18, 3, v85
	ds_store_2addr_b64 v170, v[36:37], v[28:29] offset1:1
	ds_store_b64 v170, v[12:13] offset:16
	v_mul_u32_u24_e32 v12, 3, v40
	v_mul_u32_u24_e32 v13, 3, v41
	v_fmac_f32_e32 v5, 0x3f5db3d7, v22
	v_lshlrev_b32_e32 v169, 3, v19
	v_lshlrev_b32_e32 v174, 3, v18
	;; [unrolled: 1-line block ×4, first 2 shown]
	v_mul_u32_u24_e32 v172, 3, v42
	ds_store_2addr_b64 v169, v[38:39], v[24:25] offset1:1
	ds_store_b64 v169, v[14:15] offset:16
	ds_store_2addr_b64 v174, v[30:31], v[20:21] offset1:1
	ds_store_b64 v174, v[8:9] offset:16
	;; [unrolled: 2-line block ×4, first 2 shown]
	s_and_saveexec_b32 s0, vcc_lo
	s_cbranch_execz .LBB0_7
; %bb.6:
	v_lshlrev_b32_e32 v8, 3, v172
	ds_store_2addr_b64 v8, v[58:59], v[6:7] offset1:1
	ds_store_b64 v8, v[4:5] offset:16
.LBB0_7:
	s_or_b32 exec_lo, exec_lo, s0
	v_add_nc_u32_e32 v8, 0x800, v163
	v_add_nc_u32_e32 v9, 0x1000, v163
	;; [unrolled: 1-line block ×5, first 2 shown]
	s_waitcnt lgkmcnt(0)
	s_barrier
	buffer_gl0_inv
	ds_load_2addr_b64 v[32:35], v163 offset1:108
	ds_load_2addr_b64 v[52:55], v8 offset0:32 offset1:140
	ds_load_2addr_b64 v[48:51], v9 offset0:64 offset1:172
	;; [unrolled: 1-line block ×5, first 2 shown]
	v_cmp_gt_u16_e64 s0, 0x48, v164
	s_delay_alu instid0(VALU_DEP_1)
	s_and_saveexec_b32 s1, s0
	s_cbranch_execz .LBB0_9
; %bb.8:
	ds_load_b64 v[2:3], v163 offset:1728
	ds_load_b64 v[56:57], v163 offset:4032
	;; [unrolled: 1-line block ×6, first 2 shown]
.LBB0_9:
	s_or_b32 exec_lo, exec_lo, s1
	v_and_b32_e32 v87, 0xff, v164
	v_and_b32_e32 v88, 0xff, v84
	s_delay_alu instid0(VALU_DEP_2) | instskip(NEXT) | instid1(VALU_DEP_1)
	v_mul_lo_u16 v8, 0xab, v87
	v_lshrrev_b16 v62, 9, v8
	s_delay_alu instid0(VALU_DEP_3) | instskip(NEXT) | instid1(VALU_DEP_2)
	v_mul_lo_u16 v8, 0xab, v88
	v_mul_lo_u16 v9, v62, 3
	s_delay_alu instid0(VALU_DEP_2) | instskip(NEXT) | instid1(VALU_DEP_2)
	v_lshrrev_b16 v63, 9, v8
	v_sub_nc_u16 v8, v164, v9
	s_delay_alu instid0(VALU_DEP_2) | instskip(NEXT) | instid1(VALU_DEP_2)
	v_mul_lo_u16 v9, v63, 3
	v_and_b32_e32 v65, 0xff, v8
	s_delay_alu instid0(VALU_DEP_2) | instskip(NEXT) | instid1(VALU_DEP_2)
	v_sub_nc_u16 v11, v84, v9
	v_mad_u64_u32 v[8:9], null, v65, 40, s[2:3]
	s_delay_alu instid0(VALU_DEP_2) | instskip(SKIP_4) | instid1(VALU_DEP_1)
	v_and_b32_e32 v67, 0xff, v11
	s_clause 0x1
	global_load_b128 v[28:31], v[8:9], off
	global_load_b128 v[24:27], v[8:9], off offset:16
	v_and_b32_e32 v89, 0xffff, v85
	v_mul_u32_u24_e32 v10, 0xaaab, v89
	s_delay_alu instid0(VALU_DEP_1) | instskip(NEXT) | instid1(VALU_DEP_1)
	v_lshrrev_b32_e32 v64, 17, v10
	v_mul_lo_u16 v10, v64, 3
	s_delay_alu instid0(VALU_DEP_1)
	v_sub_nc_u16 v66, v85, v10
	v_mad_u64_u32 v[10:11], null, v67, 40, s[2:3]
	s_clause 0x2
	global_load_b64 v[151:152], v[8:9], off offset:32
	global_load_b128 v[20:23], v[10:11], off
	global_load_b128 v[16:19], v[10:11], off offset:16
	v_mul_lo_u16 v12, v66, 40
	v_mad_u16 v166, v64, 18, v66
	s_delay_alu instid0(VALU_DEP_2) | instskip(NEXT) | instid1(VALU_DEP_1)
	v_and_b32_e32 v12, 0xffff, v12
	v_add_co_u32 v60, s1, s2, v12
	s_delay_alu instid0(VALU_DEP_1)
	v_add_co_ci_u32_e64 v61, null, s3, 0, s1
	s_clause 0x3
	global_load_b64 v[149:150], v[10:11], off offset:32
	global_load_b128 v[12:15], v[60:61], off
	global_load_b128 v[8:11], v[60:61], off offset:16
	global_load_b64 v[147:148], v[60:61], off offset:32
	v_and_b32_e32 v60, 0xffff, v62
	v_and_b32_e32 v61, 0xffff, v63
	s_waitcnt vmcnt(0) lgkmcnt(0)
	s_barrier
	buffer_gl0_inv
	v_mul_u32_u24_e32 v60, 18, v60
	v_mul_f32_e32 v62, v49, v31
	v_mul_f32_e32 v64, v45, v25
	;; [unrolled: 1-line block ×3, first 2 shown]
	s_delay_alu instid0(VALU_DEP_4)
	v_add_lshl_u32 v168, v60, v65, 3
	v_mul_f32_e32 v63, v48, v31
	v_mul_f32_e32 v65, v44, v25
	v_fma_f32 v48, v48, v30, -v62
	v_fma_f32 v44, v44, v24, -v64
	v_dual_mul_f32 v60, v53, v29 :: v_dual_mul_f32 v69, v36, v152
	v_mul_f32_e32 v68, v37, v152
	v_mul_f32_e32 v70, v55, v21
	v_mul_u32_u24_e32 v61, 18, v61
	v_dual_mul_f32 v71, v54, v21 :: v_dual_mul_f32 v72, v51, v23
	v_mul_f32_e32 v73, v50, v23
	v_dual_mul_f32 v75, v46, v17 :: v_dual_mul_f32 v76, v43, v19
	s_delay_alu instid0(VALU_DEP_4)
	v_add_lshl_u32 v167, v61, v67, 3
	v_dual_mul_f32 v67, v40, v27 :: v_dual_mul_f32 v74, v47, v17
	v_mul_f32_e32 v77, v42, v19
	v_fma_f32 v40, v40, v26, -v66
	v_fma_f32 v36, v36, v151, -v68
	v_fmac_f32_e32 v63, v49, v30
	v_mul_f32_e32 v78, v39, v150
	v_dual_mul_f32 v79, v38, v150 :: v_dual_mul_f32 v82, v1, v15
	v_mul_f32_e32 v80, v57, v13
	v_dual_mul_f32 v81, v56, v13 :: v_dual_mul_f32 v92, v7, v11
	v_dual_mul_f32 v83, v0, v15 :: v_dual_mul_f32 v90, v59, v9
	;; [unrolled: 1-line block ×3, first 2 shown]
	v_mul_f32_e32 v93, v6, v11
	v_fmac_f32_e32 v67, v41, v26
	v_fma_f32 v41, v50, v22, -v72
	v_fma_f32 v42, v42, v18, -v76
	;; [unrolled: 1-line block ×3, first 2 shown]
	v_fmac_f32_e32 v79, v39, v149
	v_fma_f32 v39, v56, v12, -v80
	v_fma_f32 v0, v0, v14, -v82
	v_fmac_f32_e32 v83, v1, v14
	v_fma_f32 v1, v58, v8, -v90
	v_fma_f32 v6, v6, v10, -v92
	v_add_f32_e32 v50, v44, v36
	v_mul_f32_e32 v95, v4, v148
	v_fma_f32 v4, v4, v147, -v94
	v_fmac_f32_e32 v93, v7, v10
	v_mul_f32_e32 v61, v52, v29
	v_fma_f32 v52, v52, v28, -v60
	v_dual_fmac_f32 v69, v37, v151 :: v_dual_add_f32 v66, v2, v0
	v_fma_f32 v37, v54, v20, -v70
	v_fmac_f32_e32 v71, v55, v20
	v_dual_fmac_f32 v75, v47, v16 :: v_dual_add_f32 v56, v41, v42
	v_fmac_f32_e32 v65, v45, v24
	v_fma_f32 v45, v46, v16, -v74
	v_fmac_f32_e32 v73, v51, v22
	v_dual_fmac_f32 v81, v57, v12 :: v_dual_add_f32 v68, v0, v6
	v_dual_fmac_f32 v91, v59, v8 :: v_dual_sub_f32 v74, v0, v6
	v_dual_fmac_f32 v77, v43, v18 :: v_dual_add_f32 v46, v33, v63
	v_add_f32_e32 v0, v39, v1
	s_delay_alu instid0(VALU_DEP_3) | instskip(SKIP_4) | instid1(VALU_DEP_3)
	v_add_f32_e32 v78, v81, v91
	v_sub_f32_e32 v82, v1, v4
	v_dual_fmac_f32 v95, v5, v147 :: v_dual_sub_f32 v70, v83, v93
	v_add_f32_e32 v7, v48, v40
	v_dual_add_f32 v5, v32, v48 :: v_dual_add_f32 v72, v3, v83
	v_dual_add_f32 v49, v52, v44 :: v_dual_add_f32 v80, v91, v95
	v_dual_sub_f32 v44, v44, v36 :: v_dual_sub_f32 v43, v63, v67
	v_dual_add_f32 v47, v63, v67 :: v_dual_fmac_f32 v52, -0.5, v50
	v_add_f32_e32 v60, v37, v45
	v_dual_fmac_f32 v61, v53, v28 :: v_dual_add_f32 v58, v35, v73
	v_dual_sub_f32 v57, v73, v77 :: v_dual_fmac_f32 v2, -0.5, v68
	v_dual_add_f32 v59, v73, v77 :: v_dual_add_f32 v50, v0, v4
	v_add_f32_e32 v62, v45, v38
	v_add_f32_e32 v64, v71, v75
	v_add_f32_e32 v54, v65, v69
	v_add_f32_e32 v55, v34, v41
	v_sub_f32_e32 v51, v65, v69
	v_add_f32_e32 v73, v83, v93
	v_sub_f32_e32 v76, v91, v95
	v_fma_f32 v83, -0.5, v7, v32
	v_fma_f32 v34, -0.5, v56, v34
	v_dual_sub_f32 v48, v48, v40 :: v_dual_add_f32 v53, v61, v65
	v_sub_f32_e32 v41, v41, v42
	v_add_f32_e32 v5, v5, v40
	v_add_f32_e32 v32, v49, v36
	v_sub_f32_e32 v45, v45, v38
	v_fmac_f32_e32 v61, -0.5, v54
	v_add_f32_e32 v36, v55, v42
	v_dual_add_f32 v38, v60, v38 :: v_dual_fmac_f32 v35, -0.5, v59
	v_dual_fmamk_f32 v54, v43, 0x3f5db3d7, v83 :: v_dual_fmamk_f32 v55, v57, 0x3f5db3d7, v34
	v_dual_fmac_f32 v34, 0xbf5db3d7, v57 :: v_dual_add_f32 v65, v75, v79
	v_dual_add_f32 v0, v5, v32 :: v_dual_add_f32 v7, v46, v67
	v_fma_f32 v46, -0.5, v47, v33
	v_sub_f32_e32 v63, v75, v79
	v_dual_add_f32 v75, v1, v4 :: v_dual_add_f32 v40, v58, v77
	v_fmac_f32_e32 v83, 0xbf5db3d7, v43
	s_delay_alu instid0(VALU_DEP_4)
	v_fmamk_f32 v43, v48, 0xbf5db3d7, v46
	v_fmac_f32_e32 v46, 0x3f5db3d7, v48
	v_fmamk_f32 v48, v51, 0x3f5db3d7, v52
	v_fmac_f32_e32 v52, 0xbf5db3d7, v51
	v_sub_f32_e32 v4, v5, v32
	v_sub_f32_e32 v32, v36, v38
	v_dual_add_f32 v47, v66, v6 :: v_dual_fmamk_f32 v56, v41, 0xbf5db3d7, v35
	v_fmac_f32_e32 v3, -0.5, v73
	v_fmac_f32_e32 v39, -0.5, v75
	v_dual_add_f32 v33, v53, v69 :: v_dual_add_f32 v6, v36, v38
	v_dual_fmac_f32 v37, -0.5, v62 :: v_dual_add_f32 v42, v64, v79
	v_fmac_f32_e32 v71, -0.5, v65
	v_fmamk_f32 v57, v70, 0x3f5db3d7, v2
	v_dual_fmac_f32 v2, 0xbf5db3d7, v70 :: v_dual_add_f32 v49, v72, v93
	v_add_f32_e32 v72, v47, v50
	v_fmamk_f32 v58, v74, 0xbf5db3d7, v3
	v_fmac_f32_e32 v3, 0x3f5db3d7, v74
	v_dual_sub_f32 v74, v47, v50 :: v_dual_add_f32 v53, v78, v95
	v_fmamk_f32 v36, v76, 0x3f5db3d7, v39
	v_fmac_f32_e32 v39, 0xbf5db3d7, v76
	v_fmamk_f32 v51, v44, 0xbf5db3d7, v61
	v_add_f32_e32 v1, v7, v33
	v_sub_f32_e32 v5, v7, v33
	v_fmac_f32_e32 v35, 0x3f5db3d7, v41
	v_dual_sub_f32 v33, v40, v42 :: v_dual_mul_f32 v62, -0.5, v39
	v_dual_add_f32 v7, v40, v42 :: v_dual_mul_f32 v42, -0.5, v52
	v_fmamk_f32 v41, v63, 0x3f5db3d7, v37
	v_fmac_f32_e32 v37, 0xbf5db3d7, v63
	v_dual_fmac_f32 v81, -0.5, v80 :: v_dual_mul_f32 v40, 0x3f5db3d7, v51
	s_delay_alu instid0(VALU_DEP_2) | instskip(NEXT) | instid1(VALU_DEP_2)
	v_dual_mul_f32 v63, 0xbf5db3d7, v36 :: v_dual_mul_f32 v50, -0.5, v37
	v_fmamk_f32 v38, v82, 0xbf5db3d7, v81
	v_fmac_f32_e32 v61, 0x3f5db3d7, v44
	v_fmamk_f32 v44, v45, 0xbf5db3d7, v71
	v_add_f32_e32 v73, v49, v53
	s_delay_alu instid0(VALU_DEP_4) | instskip(SKIP_1) | instid1(VALU_DEP_4)
	v_dual_sub_f32 v75, v49, v53 :: v_dual_mul_f32 v60, 0x3f5db3d7, v38
	v_fmac_f32_e32 v40, 0.5, v48
	v_dual_mul_f32 v49, 0x3f5db3d7, v44 :: v_dual_fmac_f32 v42, 0x3f5db3d7, v61
	s_delay_alu instid0(VALU_DEP_3) | instskip(NEXT) | instid1(VALU_DEP_2)
	v_dual_fmac_f32 v63, 0.5, v38 :: v_dual_fmac_f32 v60, 0.5, v36
	v_dual_add_f32 v36, v54, v40 :: v_dual_fmac_f32 v49, 0.5, v41
	v_dual_fmac_f32 v81, 0x3f5db3d7, v82 :: v_dual_sub_f32 v40, v54, v40
	s_delay_alu instid0(VALU_DEP_1)
	v_dual_add_f32 v77, v58, v63 :: v_dual_mul_f32 v64, -0.5, v81
	v_dual_fmac_f32 v71, 0x3f5db3d7, v45 :: v_dual_add_f32 v38, v83, v42
	v_dual_mul_f32 v45, 0xbf5db3d7, v48 :: v_dual_sub_f32 v42, v83, v42
	v_dual_mul_f32 v53, 0xbf5db3d7, v41 :: v_dual_sub_f32 v80, v57, v60
	v_sub_f32_e32 v48, v55, v49
	v_fmac_f32_e32 v62, 0x3f5db3d7, v81
	v_dual_mul_f32 v47, -0.5, v61 :: v_dual_add_f32 v76, v57, v60
	v_mul_f32_e32 v59, -0.5, v71
	v_dual_fmac_f32 v53, 0.5, v44 :: v_dual_add_f32 v44, v55, v49
	v_fmac_f32_e32 v64, 0xbf5db3d7, v39
	v_dual_add_f32 v78, v2, v62 :: v_dual_fmac_f32 v45, 0.5, v51
	v_fmac_f32_e32 v47, 0xbf5db3d7, v52
	v_fmac_f32_e32 v50, 0x3f5db3d7, v71
	v_fmac_f32_e32 v59, 0xbf5db3d7, v37
	v_add_f32_e32 v79, v3, v64
	v_dual_add_f32 v37, v43, v45 :: v_dual_sub_f32 v82, v2, v62
	v_sub_f32_e32 v81, v58, v63
	v_sub_f32_e32 v83, v3, v64
	v_add_f32_e32 v39, v46, v47
	v_sub_f32_e32 v41, v43, v45
	v_sub_f32_e32 v43, v46, v47
	v_dual_add_f32 v45, v56, v53 :: v_dual_add_f32 v46, v34, v50
	v_dual_add_f32 v47, v35, v59 :: v_dual_sub_f32 v34, v34, v50
	v_sub_f32_e32 v49, v56, v53
	v_sub_f32_e32 v35, v35, v59
	ds_store_2addr_b64 v168, v[0:1], v[36:37] offset1:3
	ds_store_2addr_b64 v168, v[38:39], v[4:5] offset0:6 offset1:9
	ds_store_2addr_b64 v168, v[40:41], v[42:43] offset0:12 offset1:15
	ds_store_2addr_b64 v167, v[6:7], v[44:45] offset1:3
	ds_store_2addr_b64 v167, v[46:47], v[32:33] offset0:6 offset1:9
	ds_store_2addr_b64 v167, v[48:49], v[34:35] offset0:12 offset1:15
	s_and_saveexec_b32 s1, s0
	s_cbranch_execz .LBB0_11
; %bb.10:
	v_and_b32_e32 v0, 0xffff, v166
	s_delay_alu instid0(VALU_DEP_1)
	v_lshlrev_b32_e32 v0, 3, v0
	ds_store_2addr_b64 v0, v[72:73], v[76:77] offset1:3
	ds_store_2addr_b64 v0, v[78:79], v[74:75] offset0:6 offset1:9
	ds_store_2addr_b64 v0, v[80:81], v[82:83] offset0:12 offset1:15
.LBB0_11:
	s_or_b32 exec_lo, exec_lo, s1
	v_add_nc_u32_e32 v0, 0x800, v163
	v_add_nc_u32_e32 v1, 0x1000, v163
	;; [unrolled: 1-line block ×5, first 2 shown]
	s_waitcnt lgkmcnt(0)
	s_barrier
	buffer_gl0_inv
	ds_load_2addr_b64 v[48:51], v163 offset1:108
	ds_load_2addr_b64 v[68:71], v0 offset0:32 offset1:140
	ds_load_2addr_b64 v[64:67], v1 offset0:64 offset1:172
	;; [unrolled: 1-line block ×5, first 2 shown]
	s_and_saveexec_b32 s1, s0
	s_cbranch_execz .LBB0_13
; %bb.12:
	ds_load_b64 v[72:73], v163 offset:1728
	ds_load_b64 v[76:77], v163 offset:4032
	;; [unrolled: 1-line block ×6, first 2 shown]
.LBB0_13:
	s_or_b32 exec_lo, exec_lo, s1
	v_mul_lo_u16 v0, v87, 57
	v_mul_u32_u24_e32 v2, 0xe38f, v89
	s_delay_alu instid0(VALU_DEP_2) | instskip(SKIP_1) | instid1(VALU_DEP_3)
	v_lshrrev_b16 v87, 10, v0
	v_mul_lo_u16 v0, v88, 57
	v_lshrrev_b32_e32 v89, 20, v2
	s_delay_alu instid0(VALU_DEP_3) | instskip(NEXT) | instid1(VALU_DEP_3)
	v_mul_lo_u16 v1, v87, 18
	v_lshrrev_b16 v88, 10, v0
	s_delay_alu instid0(VALU_DEP_3) | instskip(NEXT) | instid1(VALU_DEP_3)
	v_mul_lo_u16 v2, v89, 18
	v_sub_nc_u16 v0, v164, v1
	s_delay_alu instid0(VALU_DEP_3) | instskip(NEXT) | instid1(VALU_DEP_3)
	v_mul_lo_u16 v1, v88, 18
	v_sub_nc_u16 v91, v85, v2
	s_delay_alu instid0(VALU_DEP_3) | instskip(NEXT) | instid1(VALU_DEP_3)
	v_and_b32_e32 v90, 0xff, v0
	v_sub_nc_u16 v3, v84, v1
	s_delay_alu instid0(VALU_DEP_3) | instskip(SKIP_1) | instid1(VALU_DEP_4)
	v_mul_lo_u16 v4, v91, 40
	v_mad_u16 v175, 0x6c, v89, v91
	v_mad_u64_u32 v[0:1], null, v90, 40, s[2:3]
	s_clause 0x1
	global_load_b128 v[44:47], v[0:1], off offset:120
	global_load_b128 v[40:43], v[0:1], off offset:136
	v_and_b32_e32 v92, 0xff, v3
	s_waitcnt vmcnt(1) lgkmcnt(3)
	v_dual_mul_f32 v93, v64, v47 :: v_dual_and_b32 v4, 0xffff, v4
	s_waitcnt vmcnt(0) lgkmcnt(2)
	v_mul_f32_e32 v95, v60, v41
	v_mad_u64_u32 v[2:3], null, v92, 40, s[2:3]
	s_delay_alu instid0(VALU_DEP_3) | instskip(NEXT) | instid1(VALU_DEP_1)
	v_add_co_u32 v84, s1, s2, v4
	v_add_co_ci_u32_e64 v85, null, s3, 0, s1
	s_clause 0x6
	global_load_b64 v[155:156], v[0:1], off offset:152
	global_load_b128 v[36:39], v[2:3], off offset:120
	global_load_b128 v[32:35], v[2:3], off offset:136
	global_load_b64 v[153:154], v[2:3], off offset:152
	global_load_b128 v[4:7], v[84:85], off offset:120
	global_load_b128 v[0:3], v[84:85], off offset:136
	global_load_b64 v[145:146], v[84:85], off offset:152
	v_and_b32_e32 v84, 0xffff, v87
	v_and_b32_e32 v85, 0xffff, v88
	v_mul_f32_e32 v91, v68, v45
	s_waitcnt lgkmcnt(1)
	v_dual_mul_f32 v94, v61, v41 :: v_dual_mul_f32 v97, v56, v43
	v_mul_f32_e32 v96, v57, v43
	s_waitcnt vmcnt(0) lgkmcnt(0)
	s_barrier
	s_delay_alu instid0(VALU_DEP_2)
	v_fma_f32 v60, v60, v40, -v94
	buffer_gl0_inv
	v_fmac_f32_e32 v91, v69, v44
	v_fmac_f32_e32 v95, v61, v40
	v_mul_f32_e32 v99, v52, v156
	v_mul_u32_u24_e32 v84, 0x6c, v84
	v_dual_mul_f32 v105, v62, v33 :: v_dual_mul_f32 v98, v53, v156
	v_dual_mul_f32 v103, v66, v39 :: v_dual_mul_f32 v100, v71, v37
	v_mul_f32_e32 v107, v58, v35
	s_delay_alu instid0(VALU_DEP_4)
	v_add_lshl_u32 v177, v84, v90, 3
	v_mul_f32_e32 v90, v69, v45
	v_mul_u32_u24_e32 v85, 0x6c, v85
	v_dual_mul_f32 v101, v70, v37 :: v_dual_mul_f32 v102, v67, v39
	v_mul_f32_e32 v159, v77, v5
	v_mul_f32_e32 v104, v63, v33
	s_delay_alu instid0(VALU_DEP_4)
	v_add_lshl_u32 v176, v85, v92, 3
	v_mul_f32_e32 v85, v80, v3
	v_mul_f32_e32 v92, v65, v47
	v_dual_mul_f32 v106, v59, v35 :: v_dual_mul_f32 v89, v74, v1
	v_dual_mul_f32 v157, v55, v154 :: v_dual_mul_f32 v84, v76, v5
	;; [unrolled: 1-line block ×4, first 2 shown]
	v_mul_f32_e32 v178, v83, v146
	v_mul_f32_e32 v88, v78, v7
	v_dual_mul_f32 v162, v81, v3 :: v_dual_fmac_f32 v101, v71, v36
	v_fma_f32 v90, v68, v44, -v90
	v_fma_f32 v64, v64, v46, -v92
	v_dual_fmac_f32 v93, v65, v46 :: v_dual_fmac_f32 v158, v55, v153
	v_fma_f32 v61, v56, v42, -v96
	v_fmac_f32_e32 v97, v57, v42
	v_fma_f32 v57, v52, v155, -v98
	v_dual_fmac_f32 v99, v53, v155 :: v_dual_fmac_f32 v88, v79, v6
	v_fma_f32 v65, v66, v38, -v102
	v_dual_fmac_f32 v103, v67, v38 :: v_dual_fmac_f32 v84, v77, v4
	v_fma_f32 v62, v62, v32, -v104
	v_dual_fmac_f32 v105, v63, v32 :: v_dual_add_f32 v68, v49, v93
	v_fma_f32 v58, v58, v34, -v106
	v_fmac_f32_e32 v107, v59, v34
	v_fma_f32 v59, v54, v153, -v157
	v_fma_f32 v55, v74, v0, -v161
	v_dual_fmac_f32 v89, v75, v0 :: v_dual_add_f32 v74, v60, v57
	v_fma_f32 v56, v82, v145, -v178
	s_delay_alu instid0(VALU_DEP_4)
	v_dual_fmac_f32 v87, v83, v145 :: v_dual_add_f32 v92, v62, v59
	v_fma_f32 v70, v70, v36, -v100
	v_fma_f32 v52, v76, v4, -v159
	v_fma_f32 v54, v78, v6, -v160
	v_fma_f32 v53, v80, v2, -v162
	v_dual_fmac_f32 v85, v81, v2 :: v_dual_add_f32 v76, v91, v95
	v_dual_add_f32 v63, v48, v64 :: v_dual_add_f32 v78, v50, v65
	v_add_f32_e32 v66, v64, v61
	v_sub_f32_e32 v64, v64, v61
	v_dual_sub_f32 v67, v93, v97 :: v_dual_sub_f32 v80, v103, v107
	v_dual_add_f32 v69, v93, v97 :: v_dual_add_f32 v82, v103, v107
	v_dual_add_f32 v71, v90, v60 :: v_dual_sub_f32 v60, v60, v57
	v_dual_sub_f32 v75, v95, v99 :: v_dual_add_f32 v94, v101, v105
	v_add_f32_e32 v77, v95, v99
	v_dual_add_f32 v79, v65, v58 :: v_dual_sub_f32 v96, v62, v59
	v_dual_add_f32 v81, v51, v103 :: v_dual_sub_f32 v98, v88, v85
	v_dual_sub_f32 v93, v105, v158 :: v_dual_sub_f32 v102, v54, v53
	v_dual_add_f32 v95, v105, v158 :: v_dual_sub_f32 v106, v55, v56
	v_add_f32_e32 v103, v55, v56
	v_dual_add_f32 v105, v89, v87 :: v_dual_fmac_f32 v90, -0.5, v74
	v_dual_sub_f32 v83, v65, v58 :: v_dual_add_f32 v100, v88, v85
	v_dual_add_f32 v65, v70, v62 :: v_dual_sub_f32 v104, v89, v87
	v_add_f32_e32 v62, v54, v53
	v_add_f32_e32 v61, v63, v61
	v_fma_f32 v157, -0.5, v66, v48
	v_add_f32_e32 v66, v68, v97
	v_add_f32_e32 v68, v76, v99
	v_fma_f32 v97, -0.5, v69, v49
	v_dual_add_f32 v57, v71, v57 :: v_dual_add_f32 v58, v78, v58
	v_fmac_f32_e32 v91, -0.5, v77
	v_fma_f32 v78, -0.5, v79, v50
	v_dual_add_f32 v50, v81, v107 :: v_dual_fmac_f32 v51, -0.5, v82
	v_dual_fmac_f32 v70, -0.5, v92 :: v_dual_fmac_f32 v101, -0.5, v95
	v_fma_f32 v71, -0.5, v103, v52
	v_fma_f32 v74, -0.5, v105, v84
	v_dual_add_f32 v59, v65, v59 :: v_dual_fmamk_f32 v76, v67, 0x3f5db3d7, v157
	v_add_f32_e32 v69, v94, v158
	v_fma_f32 v48, -0.5, v62, v72
	v_fma_f32 v49, -0.5, v100, v73
	v_fmamk_f32 v77, v64, 0xbf5db3d7, v97
	v_dual_fmac_f32 v97, 0x3f5db3d7, v64 :: v_dual_fmamk_f32 v92, v80, 0x3f5db3d7, v78
	v_fmamk_f32 v79, v75, 0x3f5db3d7, v90
	v_dual_fmac_f32 v90, 0xbf5db3d7, v75 :: v_dual_fmamk_f32 v75, v60, 0xbf5db3d7, v91
	v_dual_fmac_f32 v91, 0x3f5db3d7, v60 :: v_dual_add_f32 v62, v61, v57
	v_dual_sub_f32 v65, v66, v68 :: v_dual_fmamk_f32 v82, v104, 0x3f5db3d7, v71
	v_dual_fmac_f32 v78, 0xbf5db3d7, v80 :: v_dual_fmamk_f32 v95, v83, 0xbf5db3d7, v51
	v_dual_fmac_f32 v51, 0x3f5db3d7, v83 :: v_dual_fmamk_f32 v80, v93, 0x3f5db3d7, v70
	;; [unrolled: 1-line block ×3, first 2 shown]
	v_dual_mul_f32 v94, -0.5, v90 :: v_dual_fmac_f32 v101, 0x3f5db3d7, v96
	v_dual_fmac_f32 v71, 0xbf5db3d7, v104 :: v_dual_mul_f32 v60, 0xbf5db3d7, v82
	v_fmamk_f32 v83, v106, 0xbf5db3d7, v74
	v_fmac_f32_e32 v74, 0x3f5db3d7, v106
	v_dual_fmac_f32 v157, 0xbf5db3d7, v67 :: v_dual_sub_f32 v64, v61, v57
	v_add_f32_e32 v63, v66, v68
	v_add_f32_e32 v66, v58, v59
	v_dual_add_f32 v67, v50, v69 :: v_dual_mul_f32 v96, 0xbf5db3d7, v79
	v_sub_f32_e32 v68, v58, v59
	v_sub_f32_e32 v69, v50, v69
	v_fmamk_f32 v50, v98, 0x3f5db3d7, v48
	v_fmac_f32_e32 v48, 0xbf5db3d7, v98
	v_dual_mul_f32 v98, -0.5, v91 :: v_dual_fmamk_f32 v57, v102, 0xbf5db3d7, v49
	v_mul_f32_e32 v100, -0.5, v70
	v_dual_fmac_f32 v49, 0x3f5db3d7, v102 :: v_dual_mul_f32 v58, -0.5, v71
	v_mul_f32_e32 v93, 0x3f5db3d7, v75
	v_dual_mul_f32 v99, 0x3f5db3d7, v81 :: v_dual_fmac_f32 v94, 0x3f5db3d7, v91
	v_mul_f32_e32 v102, 0xbf5db3d7, v80
	v_mul_f32_e32 v59, 0x3f5db3d7, v83
	v_dual_mul_f32 v61, -0.5, v74 :: v_dual_fmac_f32 v60, 0.5, v83
	v_dual_mul_f32 v103, -0.5, v101 :: v_dual_fmac_f32 v96, 0.5, v75
	v_dual_fmac_f32 v98, 0xbf5db3d7, v90 :: v_dual_fmac_f32 v99, 0.5, v80
	v_fmac_f32_e32 v58, 0x3f5db3d7, v74
	v_dual_fmac_f32 v100, 0x3f5db3d7, v101 :: v_dual_fmac_f32 v93, 0.5, v79
	v_dual_fmac_f32 v102, 0.5, v81 :: v_dual_fmac_f32 v59, 0.5, v82
	v_dual_fmac_f32 v61, 0xbf5db3d7, v71 :: v_dual_add_f32 v74, v157, v94
	s_delay_alu instid0(VALU_DEP_3) | instskip(SKIP_3) | instid1(VALU_DEP_4)
	v_dual_fmac_f32 v103, 0xbf5db3d7, v70 :: v_dual_add_f32 v70, v76, v93
	v_dual_add_f32 v71, v77, v96 :: v_dual_add_f32 v82, v92, v99
	v_dual_add_f32 v75, v97, v98 :: v_dual_add_f32 v90, v78, v100
	v_sub_f32_e32 v76, v76, v93
	v_dual_sub_f32 v80, v157, v94 :: v_dual_add_f32 v91, v51, v103
	v_dual_sub_f32 v81, v97, v98 :: v_dual_sub_f32 v94, v78, v100
	v_dual_add_f32 v83, v95, v102 :: v_dual_sub_f32 v78, v50, v59
	v_dual_sub_f32 v93, v95, v102 :: v_dual_sub_f32 v160, v49, v61
	v_sub_f32_e32 v159, v48, v58
	v_sub_f32_e32 v79, v57, v60
	v_dual_sub_f32 v77, v77, v96 :: v_dual_sub_f32 v92, v92, v99
	v_sub_f32_e32 v95, v51, v103
	ds_store_2addr_b64 v177, v[62:63], v[70:71] offset1:18
	ds_store_2addr_b64 v177, v[74:75], v[64:65] offset0:36 offset1:54
	ds_store_2addr_b64 v177, v[76:77], v[80:81] offset0:72 offset1:90
	ds_store_2addr_b64 v176, v[66:67], v[82:83] offset1:18
	ds_store_2addr_b64 v176, v[90:91], v[68:69] offset0:36 offset1:54
	ds_store_2addr_b64 v176, v[92:93], v[94:95] offset0:72 offset1:90
	s_and_saveexec_b32 s1, s0
	s_cbranch_execz .LBB0_15
; %bb.14:
	v_dual_add_f32 v51, v73, v88 :: v_dual_add_f32 v62, v84, v89
	v_add_f32_e32 v54, v72, v54
	v_dual_add_f32 v52, v52, v55 :: v_dual_add_f32 v49, v49, v61
	s_delay_alu instid0(VALU_DEP_3) | instskip(NEXT) | instid1(VALU_DEP_2)
	v_dual_add_f32 v55, v51, v85 :: v_dual_add_f32 v62, v62, v87
	v_dual_add_f32 v63, v54, v53 :: v_dual_add_f32 v64, v52, v56
	v_dual_add_f32 v54, v57, v60 :: v_dual_and_b32 v61, 0xffff, v175
	s_delay_alu instid0(VALU_DEP_3) | instskip(NEXT) | instid1(VALU_DEP_2)
	v_dual_sub_f32 v52, v55, v62 :: v_dual_add_f32 v53, v50, v59
	v_dual_sub_f32 v51, v63, v64 :: v_dual_lshlrev_b32 v50, 3, v61
	v_add_f32_e32 v56, v55, v62
	v_dual_add_f32 v55, v63, v64 :: v_dual_add_f32 v48, v48, v58
	ds_store_2addr_b64 v50, v[55:56], v[53:54] offset1:18
	ds_store_2addr_b64 v50, v[48:49], v[51:52] offset0:36 offset1:54
	ds_store_2addr_b64 v50, v[78:79], v[159:160] offset0:72 offset1:90
.LBB0_15:
	s_or_b32 exec_lo, exec_lo, s1
	v_mad_u64_u32 v[76:77], null, 0x78, v164, s[2:3]
	s_waitcnt lgkmcnt(0)
	s_barrier
	buffer_gl0_inv
	s_add_u32 s2, s16, 0x3600
	s_addc_u32 s3, s17, 0
	v_add_nc_u32_e32 v223, 0x800, v163
	s_clause 0x7
	global_load_b128 v[72:75], v[76:77], off offset:840
	global_load_b128 v[64:67], v[76:77], off offset:856
	;; [unrolled: 1-line block ×7, first 2 shown]
	global_load_b64 v[157:158], v[76:77], off offset:952
	ds_load_2addr_b64 v[80:83], v163 offset1:108
	v_add_nc_u32_e32 v87, 0x400, v163
	s_waitcnt vmcnt(7) lgkmcnt(0)
	v_dual_mul_f32 v77, v82, v73 :: v_dual_add_nc_u32 v94, 0xc00, v163
	v_mul_f32_e32 v76, v83, v73
	ds_load_2addr_b64 v[96:99], v87 offset0:88 offset1:196
	v_add_nc_u32_e32 v89, 0x1000, v163
	ds_load_2addr_b64 v[100:103], v94 offset0:48 offset1:156
	v_add_nc_u32_e32 v92, 0x1800, v163
	v_add_nc_u32_e32 v95, 0x2000, v163
	;; [unrolled: 1-line block ×3, first 2 shown]
	v_lshlrev_b32_e32 v216, 3, v164
	v_fma_f32 v76, v82, v72, -v76
	v_fmac_f32_e32 v77, v83, v72
	s_waitcnt vmcnt(6) lgkmcnt(1)
	v_dual_mul_f32 v85, v96, v75 :: v_dual_mul_f32 v90, v99, v65
	ds_load_2addr_b64 v[104:107], v89 offset0:136 offset1:244
	v_mul_f32_e32 v91, v98, v65
	ds_load_2addr_b64 v[178:181], v92 offset0:96 offset1:204
	s_waitcnt vmcnt(5) lgkmcnt(2)
	v_dual_mul_f32 v194, v103, v57 :: v_dual_add_nc_u32 v93, 0x2800, v163
	v_dual_mul_f32 v195, v102, v57 :: v_dual_mul_f32 v84, v97, v75
	v_mul_f32_e32 v162, v100, v67
	v_fma_f32 v83, v98, v64, -v90
	s_delay_alu instid0(VALU_DEP_4) | instskip(SKIP_1) | instid1(VALU_DEP_4)
	v_fma_f32 v90, v102, v56, -v194
	v_fmac_f32_e32 v85, v97, v74
	v_fmac_f32_e32 v162, v101, v66
	s_waitcnt vmcnt(4) lgkmcnt(1)
	v_mul_f32_e32 v198, v107, v49
	ds_load_2addr_b64 v[182:185], v95 offset0:56 offset1:164
	ds_load_2addr_b64 v[186:189], v93 offset0:16 offset1:124
	;; [unrolled: 1-line block ×3, first 2 shown]
	s_waitcnt lgkmcnt(3)
	v_mul_f32_e32 v200, v179, v51
	s_waitcnt vmcnt(3)
	v_dual_mul_f32 v196, v105, v59 :: v_dual_mul_f32 v203, v180, v69
	v_dual_mul_f32 v197, v104, v59 :: v_dual_mul_f32 v202, v181, v69
	v_mul_f32_e32 v199, v106, v49
	v_mul_f32_e32 v201, v178, v51
	v_fma_f32 v82, v96, v74, -v84
	v_fma_f32 v96, v104, v58, -v196
	;; [unrolled: 1-line block ×3, first 2 shown]
	s_waitcnt vmcnt(2) lgkmcnt(2)
	v_mul_f32_e32 v206, v185, v61
	s_waitcnt vmcnt(1) lgkmcnt(1)
	v_dual_mul_f32 v204, v183, v71 :: v_dual_mul_f32 v211, v188, v53
	s_waitcnt lgkmcnt(0)
	v_dual_mul_f32 v207, v184, v61 :: v_dual_mul_f32 v212, v191, v55
	v_fma_f32 v98, v178, v50, -v200
	v_mul_f32_e32 v161, v101, v67
	s_waitcnt vmcnt(0)
	v_dual_mul_f32 v208, v187, v63 :: v_dual_mul_f32 v215, v192, v158
	v_fma_f32 v104, v190, v54, -v212
	v_sub_f32_e32 v98, v80, v98
	v_fma_f32 v84, v100, v66, -v161
	v_fma_f32 v100, v182, v70, -v204
	v_mul_f32_e32 v213, v190, v55
	v_fmac_f32_e32 v197, v105, v58
	v_dual_fmac_f32 v201, v179, v50 :: v_dual_sub_f32 v104, v96, v104
	v_fma_f32 v102, v186, v62, -v208
	v_sub_f32_e32 v100, v82, v100
	s_delay_alu instid0(VALU_DEP_3) | instskip(NEXT) | instid1(VALU_DEP_3)
	v_dual_fmac_f32 v91, v99, v64 :: v_dual_sub_f32 v106, v81, v201
	v_dual_fmac_f32 v195, v103, v56 :: v_dual_sub_f32 v102, v84, v102
	v_fmac_f32_e32 v211, v189, v52
	s_delay_alu instid0(VALU_DEP_4)
	v_fma_f32 v82, v82, 2.0, -v100
	v_fma_f32 v96, v96, 2.0, -v104
	v_fmac_f32_e32 v213, v191, v54
	v_dual_mul_f32 v205, v182, v71 :: v_dual_mul_f32 v210, v189, v53
	v_dual_mul_f32 v209, v186, v63 :: v_dual_mul_f32 v214, v193, v158
	v_fma_f32 v99, v180, v68, -v202
	v_fma_f32 v101, v184, v60, -v206
	v_fma_f32 v84, v84, 2.0, -v102
	v_dual_add_f32 v102, v106, v102 :: v_dual_fmac_f32 v203, v181, v68
	v_sub_f32_e32 v180, v195, v211
	v_sub_f32_e32 v96, v82, v96
	v_dual_fmac_f32 v199, v107, v48 :: v_dual_sub_f32 v178, v197, v213
	v_fmac_f32_e32 v215, v193, v157
	v_fmac_f32_e32 v205, v183, v70
	v_fma_f32 v80, v80, 2.0, -v98
	v_fmac_f32_e32 v209, v187, v62
	v_fma_f32 v183, v197, 2.0, -v178
	v_fma_f32 v184, v195, 2.0, -v180
	v_dual_sub_f32 v101, v83, v101 :: v_dual_sub_f32 v178, v100, v178
	v_dual_fmac_f32 v207, v185, v60 :: v_dual_sub_f32 v182, v199, v215
	v_fma_f32 v103, v188, v52, -v210
	v_sub_f32_e32 v99, v76, v99
	v_sub_f32_e32 v84, v80, v84
	v_fma_f32 v81, v81, 2.0, -v106
	v_fma_f32 v185, v199, 2.0, -v182
	v_dual_sub_f32 v182, v101, v182 :: v_dual_sub_f32 v107, v162, v209
	v_sub_f32_e32 v180, v99, v180
	v_fma_f32 v76, v76, 2.0, -v99
	v_fma_f32 v105, v192, v157, -v214
	v_fma_f32 v100, v100, 2.0, -v178
	v_fma_f32 v162, v162, 2.0, -v107
	v_sub_f32_e32 v103, v90, v103
	v_dual_sub_f32 v181, v91, v207 :: v_dual_fmamk_f32 v188, v182, 0x3f3504f3, v180
	v_fma_f32 v99, v99, 2.0, -v180
	s_delay_alu instid0(VALU_DEP_4) | instskip(NEXT) | instid1(VALU_DEP_4)
	v_sub_f32_e32 v162, v81, v162
	v_fma_f32 v90, v90, 2.0, -v103
	v_sub_f32_e32 v161, v85, v205
	v_fma_f32 v91, v91, 2.0, -v181
	v_fma_f32 v190, v80, 2.0, -v84
	;; [unrolled: 1-line block ×3, first 2 shown]
	v_sub_f32_e32 v90, v76, v90
	v_dual_add_f32 v104, v161, v104 :: v_dual_sub_f32 v107, v98, v107
	v_sub_f32_e32 v179, v77, v203
	v_fma_f32 v85, v85, 2.0, -v161
	v_fma_f32 v80, v82, 2.0, -v96
	s_delay_alu instid0(VALU_DEP_4) | instskip(SKIP_4) | instid1(VALU_DEP_4)
	v_fma_f32 v161, v161, 2.0, -v104
	v_fmamk_f32 v186, v178, 0x3f3504f3, v107
	v_fma_f32 v77, v77, 2.0, -v179
	v_dual_add_f32 v103, v179, v103 :: v_dual_add_f32 v194, v162, v96
	v_fma_f32 v82, v76, 2.0, -v90
	v_fmac_f32_e32 v186, 0xbf3504f3, v104
	v_fma_f32 v98, v98, 2.0, -v107
	v_sub_f32_e32 v105, v97, v105
	v_sub_f32_e32 v184, v77, v184
	v_fma_f32 v83, v83, 2.0, -v101
	v_fma_f32 v101, v101, 2.0, -v182
	v_fmamk_f32 v192, v100, 0xbf3504f3, v98
	v_fma_f32 v97, v97, 2.0, -v105
	v_add_f32_e32 v105, v181, v105
	v_sub_f32_e32 v183, v85, v183
	v_fma_f32 v179, v179, 2.0, -v103
	v_sub_f32_e32 v185, v91, v185
	v_sub_f32_e32 v97, v83, v97
	v_fmac_f32_e32 v188, 0xbf3504f3, v105
	v_fma_f32 v81, v85, 2.0, -v183
	v_fmamk_f32 v187, v104, 0x3f3504f3, v102
	v_fmamk_f32 v104, v101, 0xbf3504f3, v99
	v_fma_f32 v76, v83, 2.0, -v97
	v_fma_f32 v85, v77, 2.0, -v184
	;; [unrolled: 1-line block ×3, first 2 shown]
	v_dual_sub_f32 v183, v84, v183 :: v_dual_fmac_f32 v192, 0xbf3504f3, v161
	s_delay_alu instid0(VALU_DEP_4) | instskip(SKIP_4) | instid1(VALU_DEP_4)
	v_dual_sub_f32 v91, v82, v76 :: v_dual_fmamk_f32 v76, v188, 0x3f6c835e, v186
	v_fma_f32 v181, v181, 2.0, -v105
	v_fmamk_f32 v189, v105, 0x3f3504f3, v103
	v_dual_sub_f32 v105, v190, v80 :: v_dual_sub_f32 v96, v85, v77
	v_fma_f32 v106, v106, 2.0, -v102
	v_fmac_f32_e32 v104, 0xbf3504f3, v181
	s_delay_alu instid0(VALU_DEP_4) | instskip(SKIP_4) | instid1(VALU_DEP_4)
	v_dual_fmac_f32 v189, 0x3f3504f3, v182 :: v_dual_sub_f32 v182, v191, v81
	v_fmac_f32_e32 v187, 0x3f3504f3, v178
	v_dual_fmamk_f32 v178, v181, 0xbf3504f3, v179 :: v_dual_sub_f32 v185, v90, v185
	v_fma_f32 v197, v162, 2.0, -v194
	v_fma_f32 v162, v180, 2.0, -v188
	v_fma_f32 v198, v102, 2.0, -v187
	v_fma_f32 v180, v190, 2.0, -v105
	v_fma_f32 v102, v90, 2.0, -v185
	v_dual_sub_f32 v90, v105, v96 :: v_dual_add_f32 v195, v184, v97
	v_fmamk_f32 v80, v185, 0x3f3504f3, v183
	v_fmamk_f32 v193, v161, 0xbf3504f3, v106
	v_fmac_f32_e32 v178, 0x3f3504f3, v101
	v_fma_f32 v181, v191, 2.0, -v182
	v_fma_f32 v161, v184, 2.0, -v195
	;; [unrolled: 1-line block ×8, first 2 shown]
	v_dual_sub_f32 v98, v180, v98 :: v_dual_fmac_f32 v193, 0x3f3504f3, v100
	v_fma_f32 v100, v85, 2.0, -v96
	v_fma_f32 v103, v103, 2.0, -v189
	v_fmac_f32_e32 v80, 0xbf3504f3, v195
	v_dual_fmamk_f32 v82, v102, 0xbf3504f3, v196 :: v_dual_fmamk_f32 v83, v161, 0xbf3504f3, v197
	v_fma_f32 v190, v106, 2.0, -v193
	v_dual_sub_f32 v99, v181, v100 :: v_dual_fmamk_f32 v100, v191, 0xbf6c835e, v184
	v_dual_fmamk_f32 v84, v162, 0xbec3ef15, v107 :: v_dual_fmamk_f32 v85, v103, 0xbec3ef15, v198
	s_delay_alu instid0(VALU_DEP_3)
	v_fmamk_f32 v101, v179, 0xbf6c835e, v190
	v_dual_fmamk_f32 v96, v104, 0x3ec3ef15, v192 :: v_dual_fmamk_f32 v97, v178, 0x3ec3ef15, v193
	v_fmamk_f32 v81, v195, 0x3f3504f3, v194
	v_fmamk_f32 v77, v189, 0x3f6c835e, v187
	v_dual_add_f32 v91, v182, v91 :: v_dual_fmac_f32 v76, 0xbec3ef15, v189
	v_fmac_f32_e32 v100, 0xbec3ef15, v179
	v_fmac_f32_e32 v101, 0x3ec3ef15, v191
	;; [unrolled: 1-line block ×10, first 2 shown]
	v_fma_f32 v103, v182, 2.0, -v91
	v_fma_f32 v104, v183, 2.0, -v80
	;; [unrolled: 1-line block ×16, first 2 shown]
	ds_store_2addr_b64 v163, v[161:162], v[182:183] offset1:108
	ds_store_2addr_b64 v87, v[178:179], v[180:181] offset0:88 offset1:196
	ds_store_2addr_b64 v94, v[102:103], v[184:185] offset0:48 offset1:156
	;; [unrolled: 1-line block ×7, first 2 shown]
	v_add_co_u32 v82, s1, s2, v216
	s_delay_alu instid0(VALU_DEP_1)
	v_add_co_ci_u32_e64 v83, null, s3, 0, s1
	s_waitcnt lgkmcnt(0)
	s_barrier
	buffer_gl0_inv
	global_load_b64 v[90:91], v216, s[2:3]
	v_add_co_u32 v80, s1, 0x3000, v82
	s_delay_alu instid0(VALU_DEP_1) | instskip(SKIP_4) | instid1(VALU_DEP_1)
	v_add_co_ci_u32_e64 v81, s1, 0, v83, s1
	s_clause 0x1
	global_load_b64 v[161:162], v216, s[2:3] offset:864
	global_load_b64 v[194:195], v[80:81], off offset:384
	v_add_co_u32 v84, s1, 0x1000, v82
	v_add_co_ci_u32_e64 v85, s1, 0, v83, s1
	v_add_co_u32 v82, s1, 0x2000, v82
	s_delay_alu instid0(VALU_DEP_1)
	v_add_co_ci_u32_e64 v83, s1, 0, v83, s1
	s_clause 0xb
	global_load_b64 v[196:197], v[84:85], off offset:512
	global_load_b64 v[198:199], v216, s[2:3] offset:1728
	global_load_b64 v[200:201], v86, s[2:3]
	global_load_b64 v[202:203], v[84:85], off offset:1376
	global_load_b64 v[204:205], v[82:83], off offset:1888
	;; [unrolled: 1-line block ×4, first 2 shown]
	global_load_b64 v[210:211], v216, s[2:3] offset:2592
	global_load_b64 v[212:213], v[84:85], off offset:3104
	global_load_b64 v[214:215], v[82:83], off offset:3616
	global_load_b64 v[216:217], v216, s[2:3] offset:3456
	global_load_b64 v[218:219], v[84:85], off offset:3968
	ds_load_2addr_b64 v[96:99], v163 offset1:108
	ds_load_b64 v[220:221], v163 offset:12672
	s_waitcnt vmcnt(14) lgkmcnt(1)
	v_mul_f32_e32 v86, v97, v91
	v_mul_f32_e32 v101, v96, v91
	s_delay_alu instid0(VALU_DEP_2) | instskip(NEXT) | instid1(VALU_DEP_2)
	v_fma_f32 v100, v96, v90, -v86
	v_fmac_f32_e32 v101, v97, v90
	s_waitcnt vmcnt(12) lgkmcnt(0)
	v_mul_f32_e32 v97, v220, v195
	v_add_nc_u32_e32 v86, 0x1400, v163
	v_mul_f32_e32 v90, v99, v162
	v_mul_f32_e32 v91, v98, v162
	ds_store_b64 v163, v[100:101]
	v_fmac_f32_e32 v97, v221, v194
	ds_load_2addr_b64 v[100:103], v94 offset0:48 offset1:192
	ds_load_2addr_b64 v[104:107], v95 offset0:128 offset1:236
	;; [unrolled: 1-line block ×6, first 2 shown]
	v_mul_f32_e32 v96, v221, v195
	v_add_nc_u32_e32 v222, 0x2400, v163
	v_fma_f32 v90, v98, v161, -v90
	v_dual_fmac_f32 v91, v99, v161 :: v_dual_add_nc_u32 v224, 0x1e00, v163
	s_delay_alu instid0(VALU_DEP_4)
	v_fma_f32 v96, v220, v194, -v96
	s_waitcnt vmcnt(11) lgkmcnt(5)
	v_mul_f32_e32 v98, v103, v197
	s_waitcnt vmcnt(9) lgkmcnt(4)
	v_mul_f32_e32 v161, v105, v201
	s_waitcnt vmcnt(8) lgkmcnt(3)
	v_dual_mul_f32 v99, v102, v197 :: v_dual_mul_f32 v194, v179, v203
	v_dual_mul_f32 v195, v178, v203 :: v_dual_mul_f32 v162, v104, v201
	s_waitcnt lgkmcnt(2)
	v_mul_f32_e32 v221, v183, v199
	s_waitcnt vmcnt(7)
	v_dual_mul_f32 v201, v182, v199 :: v_dual_mul_f32 v220, v107, v205
	v_mul_f32_e32 v197, v106, v205
	s_waitcnt vmcnt(5) lgkmcnt(1)
	v_mul_f32_e32 v226, v187, v209
	v_mul_f32_e32 v203, v186, v209
	;; [unrolled: 1-line block ×3, first 2 shown]
	s_waitcnt vmcnt(3) lgkmcnt(0)
	v_dual_mul_f32 v199, v180, v207 :: v_dual_mul_f32 v228, v191, v213
	v_mul_f32_e32 v207, v190, v213
	v_mul_f32_e32 v227, v185, v211
	;; [unrolled: 1-line block ×3, first 2 shown]
	s_waitcnt vmcnt(2)
	v_mul_f32_e32 v229, v189, v215
	v_mul_f32_e32 v209, v188, v215
	s_waitcnt vmcnt(1)
	v_mul_f32_e32 v215, v101, v217
	v_mul_f32_e32 v211, v100, v217
	;; [unrolled: 3-line block ×3, first 2 shown]
	v_fma_f32 v98, v102, v196, -v98
	v_fmac_f32_e32 v99, v103, v196
	v_fma_f32 v194, v178, v202, -v194
	v_fmac_f32_e32 v195, v179, v202
	;; [unrolled: 2-line block ×12, first 2 shown]
	ds_store_2addr_b64 v89, v[98:99], v[194:195] offset0:64 offset1:172
	ds_store_2addr_b64 v163, v[90:91], v[200:201] offset0:108 offset1:216
	;; [unrolled: 1-line block ×7, first 2 shown]
	s_and_saveexec_b32 s1, vcc_lo
	s_cbranch_execz .LBB0_17
; %bb.16:
	s_clause 0x2
	global_load_b64 v[84:85], v[84:85], off offset:224
	global_load_b64 v[88:89], v[82:83], off offset:736
	;; [unrolled: 1-line block ×3, first 2 shown]
	v_add_nc_u32_e32 v100, 0xe0, v163
	ds_load_2addr_stride64_b64 v[80:83], v100 offset0:8 offset1:17
	ds_load_b64 v[96:97], v163 offset:13536
	s_waitcnt vmcnt(2) lgkmcnt(1)
	v_mul_f32_e32 v99, v80, v85
	v_mul_f32_e32 v98, v81, v85
	s_waitcnt vmcnt(0) lgkmcnt(0)
	v_dual_mul_f32 v101, v83, v89 :: v_dual_mul_f32 v102, v97, v91
	v_mul_f32_e32 v85, v82, v89
	v_mul_f32_e32 v89, v96, v91
	v_fma_f32 v98, v80, v84, -v98
	v_fmac_f32_e32 v99, v81, v84
	v_fma_f32 v84, v82, v88, -v101
	v_fmac_f32_e32 v85, v83, v88
	;; [unrolled: 2-line block ×3, first 2 shown]
	ds_store_2addr_stride64_b64 v100, v[98:99], v[84:85] offset0:8 offset1:17
	ds_store_b64 v163, v[88:89] offset:13536
.LBB0_17:
	s_or_b32 exec_lo, exec_lo, s1
	s_waitcnt lgkmcnt(0)
	s_barrier
	buffer_gl0_inv
	ds_load_2addr_b64 v[88:91], v163 offset1:108
	ds_load_2addr_b64 v[80:83], v94 offset0:48 offset1:192
	ds_load_2addr_b64 v[104:107], v95 offset0:128 offset1:236
	;; [unrolled: 1-line block ×6, first 2 shown]
	ds_load_b64 v[161:162], v163 offset:12672
	s_and_saveexec_b32 s1, vcc_lo
	s_cbranch_execz .LBB0_19
; %bb.18:
	v_add_nc_u32_e32 v76, 0xe0, v163
	ds_load_2addr_stride64_b64 v[76:79], v76 offset0:8 offset1:17
	ds_load_b64 v[159:160], v163 offset:13536
.LBB0_19:
	s_or_b32 exec_lo, exec_lo, s1
	s_waitcnt lgkmcnt(5)
	v_dual_add_f32 v178, v82, v104 :: v_dual_add_f32 v179, v88, v82
	v_sub_f32_e32 v180, v83, v105
	v_add_f32_e32 v181, v83, v105
	v_add_f32_e32 v83, v89, v83
	s_delay_alu instid0(VALU_DEP_4)
	v_fma_f32 v88, -0.5, v178, v88
	v_sub_f32_e32 v178, v82, v104
	s_waitcnt lgkmcnt(4)
	v_dual_add_f32 v82, v179, v104 :: v_dual_add_f32 v179, v100, v106
	v_fma_f32 v89, -0.5, v181, v89
	v_dual_fmamk_f32 v104, v180, 0xbf5db3d7, v88 :: v_dual_add_f32 v83, v83, v105
	v_fmac_f32_e32 v88, 0x3f5db3d7, v180
	v_dual_add_f32 v180, v90, v100 :: v_dual_add_f32 v181, v101, v107
	s_delay_alu instid0(VALU_DEP_4) | instskip(SKIP_2) | instid1(VALU_DEP_4)
	v_fmamk_f32 v105, v178, 0x3f5db3d7, v89
	v_fmac_f32_e32 v89, 0xbf5db3d7, v178
	v_fma_f32 v90, -0.5, v179, v90
	v_dual_add_f32 v178, v180, v106 :: v_dual_sub_f32 v179, v101, v107
	v_dual_sub_f32 v106, v100, v106 :: v_dual_add_f32 v101, v91, v101
	s_waitcnt lgkmcnt(3)
	v_dual_fmac_f32 v91, -0.5, v181 :: v_dual_add_f32 v180, v84, v102
	s_delay_alu instid0(VALU_DEP_3)
	v_fmamk_f32 v100, v179, 0xbf5db3d7, v90
	v_fmac_f32_e32 v90, 0x3f5db3d7, v179
	v_add_f32_e32 v179, v101, v107
	s_waitcnt lgkmcnt(2)
	v_add_f32_e32 v107, v102, v96
	v_dual_fmamk_f32 v101, v106, 0x3f5db3d7, v91 :: v_dual_add_f32 v180, v180, v96
	v_dual_fmac_f32 v91, 0xbf5db3d7, v106 :: v_dual_sub_f32 v102, v102, v96
	v_add_f32_e32 v106, v103, v97
	s_delay_alu instid0(VALU_DEP_4)
	v_fma_f32 v84, -0.5, v107, v84
	v_sub_f32_e32 v107, v103, v97
	v_add_f32_e32 v103, v85, v103
	s_waitcnt lgkmcnt(0)
	v_fma_f32 v85, -0.5, v106, v85
	v_add_f32_e32 v106, v86, v92
	v_fmamk_f32 v96, v107, 0xbf5db3d7, v84
	v_dual_fmac_f32 v84, 0x3f5db3d7, v107 :: v_dual_add_f32 v181, v103, v97
	s_delay_alu instid0(VALU_DEP_4)
	v_fmamk_f32 v97, v102, 0x3f5db3d7, v85
	v_fmac_f32_e32 v85, 0xbf5db3d7, v102
	v_dual_add_f32 v107, v93, v99 :: v_dual_add_f32 v102, v106, v98
	v_add_f32_e32 v106, v80, v94
	v_add_f32_e32 v103, v92, v98
	v_sub_f32_e32 v98, v92, v98
	s_barrier
	buffer_gl0_inv
	v_add_f32_e32 v106, v106, v161
	v_fma_f32 v86, -0.5, v103, v86
	v_sub_f32_e32 v103, v93, v99
	v_add_f32_e32 v93, v87, v93
	s_delay_alu instid0(VALU_DEP_2) | instskip(SKIP_1) | instid1(VALU_DEP_3)
	v_dual_fmac_f32 v87, -0.5, v107 :: v_dual_fmamk_f32 v92, v103, 0xbf5db3d7, v86
	v_fmac_f32_e32 v86, 0x3f5db3d7, v103
	v_add_f32_e32 v103, v93, v99
	v_add_f32_e32 v99, v94, v161
	v_sub_f32_e32 v94, v94, v161
	s_delay_alu instid0(VALU_DEP_2) | instskip(SKIP_4) | instid1(VALU_DEP_1)
	v_fma_f32 v80, -0.5, v99, v80
	v_sub_f32_e32 v99, v95, v162
	v_fmamk_f32 v93, v98, 0x3f5db3d7, v87
	v_fmac_f32_e32 v87, 0xbf5db3d7, v98
	v_dual_add_f32 v98, v95, v162 :: v_dual_add_f32 v95, v81, v95
	v_fmac_f32_e32 v81, -0.5, v98
	s_delay_alu instid0(VALU_DEP_2) | instskip(SKIP_1) | instid1(VALU_DEP_3)
	v_add_f32_e32 v107, v95, v162
	v_dual_add_f32 v95, v78, v159 :: v_dual_add_f32 v98, v76, v78
	v_fmamk_f32 v162, v94, 0x3f5db3d7, v81
	v_dual_fmac_f32 v81, 0xbf5db3d7, v94 :: v_dual_add_f32 v94, v79, v160
	s_delay_alu instid0(VALU_DEP_3) | instskip(SKIP_1) | instid1(VALU_DEP_3)
	v_dual_fmac_f32 v76, -0.5, v95 :: v_dual_sub_f32 v95, v79, v160
	v_add_f32_e32 v79, v77, v79
	v_dual_fmac_f32 v77, -0.5, v94 :: v_dual_sub_f32 v94, v78, v159
	v_fmamk_f32 v161, v99, 0xbf5db3d7, v80
	s_delay_alu instid0(VALU_DEP_3)
	v_add_f32_e32 v160, v79, v160
	v_fmac_f32_e32 v80, 0x3f5db3d7, v99
	v_dual_add_f32 v159, v98, v159 :: v_dual_fmamk_f32 v78, v95, 0xbf5db3d7, v76
	v_dual_fmac_f32 v76, 0x3f5db3d7, v95 :: v_dual_fmamk_f32 v79, v94, 0x3f5db3d7, v77
	v_fmac_f32_e32 v77, 0xbf5db3d7, v94
	ds_store_2addr_b64 v170, v[82:83], v[104:105] offset1:1
	ds_store_b64 v170, v[88:89] offset:16
	ds_store_2addr_b64 v169, v[178:179], v[100:101] offset1:1
	ds_store_b64 v169, v[90:91] offset:16
	;; [unrolled: 2-line block ×5, first 2 shown]
	s_and_saveexec_b32 s1, vcc_lo
	s_cbranch_execz .LBB0_21
; %bb.20:
	v_lshlrev_b32_e32 v82, 3, v172
	ds_store_2addr_b64 v82, v[159:160], v[78:79] offset1:1
	ds_store_b64 v82, v[76:77] offset:16
.LBB0_21:
	s_or_b32 exec_lo, exec_lo, s1
	v_add_nc_u32_e32 v86, 0x800, v163
	v_add_nc_u32_e32 v87, 0x1000, v163
	;; [unrolled: 1-line block ×5, first 2 shown]
	s_waitcnt lgkmcnt(0)
	s_barrier
	buffer_gl0_inv
	ds_load_2addr_b64 v[82:85], v163 offset1:108
	ds_load_2addr_b64 v[102:105], v86 offset0:32 offset1:140
	ds_load_2addr_b64 v[98:101], v87 offset0:64 offset1:172
	;; [unrolled: 1-line block ×5, first 2 shown]
	s_and_saveexec_b32 s1, s0
	s_cbranch_execz .LBB0_23
; %bb.22:
	ds_load_b64 v[106:107], v163 offset:1728
	ds_load_b64 v[161:162], v163 offset:4032
	;; [unrolled: 1-line block ×6, first 2 shown]
.LBB0_23:
	s_or_b32 exec_lo, exec_lo, s1
	s_waitcnt lgkmcnt(3)
	v_mul_f32_e32 v170, v31, v99
	v_mul_f32_e32 v31, v31, v98
	;; [unrolled: 1-line block ×4, first 2 shown]
	s_waitcnt lgkmcnt(0)
	v_fmac_f32_e32 v170, v30, v98
	v_fma_f32 v30, v30, v99, -v31
	v_mul_f32_e32 v31, v27, v91
	v_fmac_f32_e32 v169, v28, v102
	v_fma_f32 v28, v28, v103, -v29
	v_mul_f32_e32 v29, v25, v95
	v_mul_f32_e32 v27, v27, v90
	v_fmac_f32_e32 v31, v26, v90
	v_mul_f32_e32 v25, v25, v94
	v_mul_f32_e32 v90, v152, v86
	v_fmac_f32_e32 v29, v24, v94
	v_fma_f32 v26, v26, v91, -v27
	v_mul_f32_e32 v27, v21, v105
	v_fma_f32 v24, v24, v95, -v25
	v_mul_f32_e32 v25, v152, v87
	v_mul_f32_e32 v21, v21, v104
	;; [unrolled: 1-line block ×3, first 2 shown]
	v_fmac_f32_e32 v27, v20, v104
	v_mul_f32_e32 v95, v9, v160
	v_fmac_f32_e32 v25, v151, v86
	v_fma_f32 v86, v151, v87, -v90
	v_mul_f32_e32 v87, v23, v101
	v_mul_f32_e32 v23, v23, v100
	v_fma_f32 v20, v20, v105, -v21
	v_mul_f32_e32 v21, v17, v97
	v_mul_f32_e32 v17, v17, v96
	v_fmac_f32_e32 v87, v22, v100
	v_fma_f32 v22, v22, v101, -v23
	v_mul_f32_e32 v23, v19, v93
	v_fmac_f32_e32 v21, v16, v96
	v_fma_f32 v90, v16, v97, -v17
	v_mul_f32_e32 v16, v150, v88
	v_fmac_f32_e32 v91, v149, v88
	v_fmac_f32_e32 v23, v18, v92
	v_mul_f32_e32 v9, v9, v159
	s_barrier
	v_fma_f32 v88, v149, v89, -v16
	v_mul_f32_e32 v89, v15, v81
	v_mul_f32_e32 v15, v15, v80
	v_fma_f32 v96, v8, v160, -v9
	v_mul_f32_e32 v97, v148, v77
	buffer_gl0_inv
	v_fmac_f32_e32 v89, v14, v80
	v_fma_f32 v80, v14, v81, -v15
	v_mul_f32_e32 v81, v11, v79
	v_mul_f32_e32 v11, v11, v78
	v_fmac_f32_e32 v97, v147, v76
	s_delay_alu instid0(VALU_DEP_3) | instskip(NEXT) | instid1(VALU_DEP_3)
	v_fmac_f32_e32 v81, v10, v78
	v_fma_f32 v78, v10, v79, -v11
	v_dual_add_f32 v10, v82, v170 :: v_dual_add_f32 v11, v28, v24
	s_delay_alu instid0(VALU_DEP_1) | instskip(SKIP_1) | instid1(VALU_DEP_2)
	v_dual_add_f32 v14, v10, v31 :: v_dual_mul_f32 v19, v19, v92
	v_add_f32_e32 v10, v83, v30
	v_fma_f32 v92, v18, v93, -v19
	v_fmac_f32_e32 v95, v8, v159
	s_delay_alu instid0(VALU_DEP_3) | instskip(SKIP_1) | instid1(VALU_DEP_2)
	v_dual_mul_f32 v8, v148, v76 :: v_dual_add_f32 v17, v10, v26
	v_mul_f32_e32 v93, v13, v162
	v_fma_f32 v76, v147, v77, -v8
	v_add_f32_e32 v8, v30, v26
	s_delay_alu instid0(VALU_DEP_1) | instskip(SKIP_2) | instid1(VALU_DEP_1)
	v_fma_f32 v19, -0.5, v8, v83
	v_sub_f32_e32 v8, v170, v31
	v_dual_add_f32 v10, v29, v25 :: v_dual_add_f32 v9, v170, v31
	v_fma_f32 v15, -0.5, v9, v82
	s_delay_alu instid0(VALU_DEP_3) | instskip(SKIP_1) | instid1(VALU_DEP_2)
	v_dual_sub_f32 v9, v30, v26 :: v_dual_fmamk_f32 v26, v8, 0x3f5db3d7, v19
	v_fmac_f32_e32 v19, 0xbf5db3d7, v8
	v_fmamk_f32 v16, v9, 0xbf5db3d7, v15
	v_fmac_f32_e32 v15, 0x3f5db3d7, v9
	v_add_f32_e32 v9, v24, v86
	v_mul_f32_e32 v13, v13, v161
	s_delay_alu instid0(VALU_DEP_2) | instskip(SKIP_1) | instid1(VALU_DEP_3)
	v_fmac_f32_e32 v28, -0.5, v9
	v_sub_f32_e32 v9, v29, v25
	v_fma_f32 v94, v12, v162, -v13
	s_delay_alu instid0(VALU_DEP_2)
	v_fmamk_f32 v8, v9, 0x3f5db3d7, v28
	v_fmac_f32_e32 v28, 0xbf5db3d7, v9
	v_fmac_f32_e32 v93, v12, v161
	v_dual_add_f32 v12, v169, v29 :: v_dual_fmac_f32 v169, -0.5, v10
	v_sub_f32_e32 v10, v24, v86
	v_mul_f32_e32 v24, 0xbf5db3d7, v8
	v_mul_f32_e32 v30, 0.5, v8
	s_delay_alu instid0(VALU_DEP_4) | instskip(NEXT) | instid1(VALU_DEP_4)
	v_dual_add_f32 v18, v12, v25 :: v_dual_mul_f32 v25, 0xbf5db3d7, v28
	v_fmamk_f32 v9, v10, 0xbf5db3d7, v169
	v_fmac_f32_e32 v169, 0x3f5db3d7, v10
	v_dual_add_f32 v29, v11, v86 :: v_dual_mul_f32 v28, -0.5, v28
	s_delay_alu instid0(VALU_DEP_4) | instskip(NEXT) | instid1(VALU_DEP_4)
	v_add_f32_e32 v8, v14, v18
	v_fmac_f32_e32 v24, 0.5, v9
	s_delay_alu instid0(VALU_DEP_4) | instskip(SKIP_2) | instid1(VALU_DEP_4)
	v_fmac_f32_e32 v25, -0.5, v169
	v_fmac_f32_e32 v30, 0x3f5db3d7, v9
	v_dual_add_f32 v9, v17, v29 :: v_dual_sub_f32 v14, v14, v18
	v_add_f32_e32 v10, v16, v24
	v_sub_f32_e32 v16, v16, v24
	v_add_f32_e32 v24, v87, v23
	v_add_f32_e32 v12, v15, v25
	v_sub_f32_e32 v18, v15, v25
	v_sub_f32_e32 v15, v17, v29
	v_fmac_f32_e32 v28, 0x3f5db3d7, v169
	v_fma_f32 v29, -0.5, v24, v84
	v_sub_f32_e32 v24, v22, v92
	v_add_f32_e32 v11, v26, v30
	v_sub_f32_e32 v17, v26, v30
	v_dual_add_f32 v25, v84, v87 :: v_dual_add_f32 v26, v22, v92
	v_add_f32_e32 v22, v85, v22
	v_fmamk_f32 v30, v24, 0xbf5db3d7, v29
	v_fmac_f32_e32 v29, 0x3f5db3d7, v24
	v_add_f32_e32 v24, v90, v88
	v_add_f32_e32 v13, v19, v28
	v_dual_sub_f32 v19, v19, v28 :: v_dual_add_f32 v28, v25, v23
	v_fmac_f32_e32 v85, -0.5, v26
	v_sub_f32_e32 v23, v87, v23
	v_dual_add_f32 v31, v22, v92 :: v_dual_add_f32 v22, v21, v91
	v_dual_add_f32 v25, v20, v90 :: v_dual_fmac_f32 v20, -0.5, v24
	s_delay_alu instid0(VALU_DEP_3) | instskip(SKIP_1) | instid1(VALU_DEP_4)
	v_dual_sub_f32 v24, v21, v91 :: v_dual_fmamk_f32 v77, v23, 0x3f5db3d7, v85
	v_add_f32_e32 v21, v27, v21
	v_dual_fmac_f32 v27, -0.5, v22 :: v_dual_sub_f32 v22, v90, v88
	v_fmac_f32_e32 v85, 0xbf5db3d7, v23
	s_delay_alu instid0(VALU_DEP_4) | instskip(SKIP_1) | instid1(VALU_DEP_4)
	v_fmamk_f32 v23, v24, 0x3f5db3d7, v20
	v_fmac_f32_e32 v20, 0xbf5db3d7, v24
	v_dual_add_f32 v26, v21, v91 :: v_dual_fmamk_f32 v21, v22, 0xbf5db3d7, v27
	v_fmac_f32_e32 v27, 0x3f5db3d7, v22
	s_delay_alu instid0(VALU_DEP_3) | instskip(SKIP_2) | instid1(VALU_DEP_3)
	v_dual_mul_f32 v79, 0xbf5db3d7, v23 :: v_dual_mul_f32 v82, 0xbf5db3d7, v20
	v_mul_f32_e32 v84, 0.5, v23
	v_mul_f32_e32 v86, -0.5, v20
	v_dual_add_f32 v20, v28, v26 :: v_dual_fmac_f32 v79, 0.5, v21
	s_delay_alu instid0(VALU_DEP_4) | instskip(NEXT) | instid1(VALU_DEP_4)
	v_fmac_f32_e32 v82, -0.5, v27
	v_fmac_f32_e32 v84, 0x3f5db3d7, v21
	v_dual_sub_f32 v26, v28, v26 :: v_dual_add_f32 v83, v25, v88
	s_delay_alu instid0(VALU_DEP_4)
	v_add_f32_e32 v22, v30, v79
	v_dual_sub_f32 v28, v30, v79 :: v_dual_add_f32 v79, v81, v89
	v_add_f32_e32 v24, v29, v82
	v_add_f32_e32 v23, v77, v84
	v_sub_f32_e32 v30, v29, v82
	v_sub_f32_e32 v29, v77, v84
	v_dual_add_f32 v77, v89, v106 :: v_dual_add_f32 v82, v78, v80
	v_dual_fmac_f32 v106, -0.5, v79 :: v_dual_sub_f32 v79, v80, v78
	v_fmac_f32_e32 v86, 0x3f5db3d7, v27
	v_add_f32_e32 v21, v31, v83
	v_sub_f32_e32 v27, v31, v83
	v_add_f32_e32 v83, v81, v77
	v_add_f32_e32 v77, v80, v107
	v_dual_fmac_f32 v107, -0.5, v82 :: v_dual_sub_f32 v80, v89, v81
	v_fmamk_f32 v82, v79, 0xbf5db3d7, v106
	v_dual_fmac_f32 v106, 0x3f5db3d7, v79 :: v_dual_add_f32 v79, v96, v76
	v_add_f32_e32 v81, v95, v93
	v_sub_f32_e32 v31, v85, v86
	v_fmamk_f32 v87, v80, 0x3f5db3d7, v107
	s_delay_alu instid0(VALU_DEP_3) | instskip(SKIP_4) | instid1(VALU_DEP_2)
	v_dual_fmac_f32 v107, 0xbf5db3d7, v80 :: v_dual_add_f32 v84, v97, v81
	v_add_f32_e32 v25, v85, v86
	v_add_f32_e32 v85, v78, v77
	v_dual_add_f32 v77, v95, v97 :: v_dual_add_f32 v78, v96, v94
	v_dual_fmac_f32 v94, -0.5, v79 :: v_dual_sub_f32 v79, v95, v97
	v_fmac_f32_e32 v93, -0.5, v77
	v_sub_f32_e32 v77, v96, v76
	s_delay_alu instid0(VALU_DEP_3) | instskip(SKIP_2) | instid1(VALU_DEP_4)
	v_dual_add_f32 v89, v76, v78 :: v_dual_fmamk_f32 v80, v79, 0x3f5db3d7, v94
	v_fmac_f32_e32 v94, 0xbf5db3d7, v79
	v_add_f32_e32 v76, v83, v84
	v_dual_sub_f32 v84, v83, v84 :: v_dual_fmamk_f32 v79, v77, 0xbf5db3d7, v93
	v_fmac_f32_e32 v93, 0x3f5db3d7, v77
	v_mul_f32_e32 v86, 0xbf5db3d7, v80
	v_mul_f32_e32 v88, 0xbf5db3d7, v94
	v_dual_mul_f32 v90, 0.5, v80 :: v_dual_mul_f32 v91, -0.5, v94
	s_delay_alu instid0(VALU_DEP_3) | instskip(NEXT) | instid1(VALU_DEP_3)
	v_dual_add_f32 v77, v85, v89 :: v_dual_fmac_f32 v86, 0.5, v79
	v_fmac_f32_e32 v88, -0.5, v93
	s_delay_alu instid0(VALU_DEP_3) | instskip(NEXT) | instid1(VALU_DEP_3)
	v_dual_fmac_f32 v90, 0x3f5db3d7, v79 :: v_dual_fmac_f32 v91, 0x3f5db3d7, v93
	v_dual_sub_f32 v85, v85, v89 :: v_dual_add_f32 v80, v82, v86
	s_delay_alu instid0(VALU_DEP_2) | instskip(NEXT) | instid1(VALU_DEP_3)
	v_dual_add_f32 v78, v106, v88 :: v_dual_add_f32 v81, v87, v90
	v_dual_add_f32 v79, v107, v91 :: v_dual_sub_f32 v82, v82, v86
	v_dual_sub_f32 v86, v106, v88 :: v_dual_sub_f32 v83, v87, v90
	v_sub_f32_e32 v87, v107, v91
	ds_store_2addr_b64 v168, v[8:9], v[10:11] offset1:3
	ds_store_2addr_b64 v168, v[12:13], v[14:15] offset0:6 offset1:9
	ds_store_2addr_b64 v168, v[16:17], v[18:19] offset0:12 offset1:15
	ds_store_2addr_b64 v167, v[20:21], v[22:23] offset1:3
	ds_store_2addr_b64 v167, v[24:25], v[26:27] offset0:6 offset1:9
	ds_store_2addr_b64 v167, v[28:29], v[30:31] offset0:12 offset1:15
	s_and_saveexec_b32 s1, s0
	s_cbranch_execz .LBB0_25
; %bb.24:
	v_and_b32_e32 v8, 0xffff, v166
	s_delay_alu instid0(VALU_DEP_1)
	v_lshlrev_b32_e32 v8, 3, v8
	ds_store_2addr_b64 v8, v[76:77], v[80:81] offset1:3
	ds_store_2addr_b64 v8, v[78:79], v[84:85] offset0:6 offset1:9
	ds_store_2addr_b64 v8, v[82:83], v[86:87] offset0:12 offset1:15
.LBB0_25:
	s_or_b32 exec_lo, exec_lo, s1
	v_add_nc_u32_e32 v12, 0x800, v163
	v_add_nc_u32_e32 v13, 0x1000, v163
	;; [unrolled: 1-line block ×5, first 2 shown]
	s_waitcnt lgkmcnt(0)
	s_barrier
	buffer_gl0_inv
	ds_load_2addr_b64 v[8:11], v163 offset1:108
	ds_load_2addr_b64 v[28:31], v12 offset0:32 offset1:140
	ds_load_2addr_b64 v[24:27], v13 offset0:64 offset1:172
	;; [unrolled: 1-line block ×5, first 2 shown]
	s_and_saveexec_b32 s1, s0
	s_cbranch_execz .LBB0_27
; %bb.26:
	ds_load_b64 v[76:77], v163 offset:1728
	ds_load_b64 v[80:81], v163 offset:4032
	;; [unrolled: 1-line block ×6, first 2 shown]
.LBB0_27:
	s_or_b32 exec_lo, exec_lo, s1
	s_waitcnt lgkmcnt(4)
	v_mul_f32_e32 v88, v45, v29
	s_waitcnt lgkmcnt(3)
	v_mul_f32_e32 v89, v47, v25
	v_mul_f32_e32 v45, v45, v28
	;; [unrolled: 1-line block ×3, first 2 shown]
	s_waitcnt lgkmcnt(0)
	v_fmac_f32_e32 v88, v44, v28
	v_fmac_f32_e32 v89, v46, v24
	v_mul_f32_e32 v24, v41, v20
	v_fma_f32 v28, v44, v29, -v45
	v_mul_f32_e32 v29, v41, v21
	v_mul_f32_e32 v41, v43, v17
	v_fma_f32 v25, v46, v25, -v47
	v_fma_f32 v21, v40, v21, -v24
	v_mul_f32_e32 v24, v156, v13
	v_fmac_f32_e32 v29, v40, v20
	v_mul_f32_e32 v20, v43, v16
	v_dual_mul_f32 v40, v37, v31 :: v_dual_fmac_f32 v41, v42, v16
	v_mul_f32_e32 v16, v156, v12
	v_fmac_f32_e32 v24, v155, v12
	v_dual_mul_f32 v12, v37, v30 :: v_dual_mul_f32 v37, v39, v27
	s_delay_alu instid0(VALU_DEP_4) | instskip(NEXT) | instid1(VALU_DEP_4)
	v_fmac_f32_e32 v40, v36, v30
	v_fma_f32 v13, v155, v13, -v16
	v_mul_f32_e32 v16, v39, v26
	s_delay_alu instid0(VALU_DEP_4)
	v_fma_f32 v30, v36, v31, -v12
	v_mul_f32_e32 v31, v33, v23
	v_mul_f32_e32 v12, v33, v22
	v_fma_f32 v17, v42, v17, -v20
	v_fmac_f32_e32 v37, v38, v26
	s_barrier
	v_fmac_f32_e32 v31, v32, v22
	v_fma_f32 v22, v32, v23, -v12
	v_mul_f32_e32 v23, v154, v15
	v_fma_f32 v26, v38, v27, -v16
	v_mul_f32_e32 v16, v35, v18
	v_mul_f32_e32 v27, v35, v19
	buffer_gl0_inv
	v_fmac_f32_e32 v23, v153, v14
	v_fma_f32 v32, v34, v19, -v16
	v_dual_add_f32 v16, v89, v41 :: v_dual_fmac_f32 v27, v34, v18
	s_delay_alu instid0(VALU_DEP_1) | instskip(SKIP_3) | instid1(VALU_DEP_2)
	v_fma_f32 v19, -0.5, v16, v8
	v_mul_f32_e32 v12, v154, v14
	v_add_f32_e32 v14, v8, v89
	v_sub_f32_e32 v8, v25, v17
	v_add_f32_e32 v16, v14, v41
	v_add_f32_e32 v14, v9, v25
	s_delay_alu instid0(VALU_DEP_3)
	v_fmamk_f32 v18, v8, 0xbf5db3d7, v19
	v_fmac_f32_e32 v19, 0x3f5db3d7, v8
	v_fma_f32 v33, v153, v15, -v12
	v_add_f32_e32 v12, v25, v17
	v_add_f32_e32 v17, v14, v17
	;; [unrolled: 1-line block ×3, first 2 shown]
	s_delay_alu instid0(VALU_DEP_3) | instskip(SKIP_2) | instid1(VALU_DEP_4)
	v_fma_f32 v25, -0.5, v12, v9
	v_sub_f32_e32 v9, v89, v41
	v_add_f32_e32 v12, v29, v24
	v_add_f32_e32 v20, v15, v24
	s_delay_alu instid0(VALU_DEP_3) | instskip(NEXT) | instid1(VALU_DEP_3)
	v_fmamk_f32 v34, v9, 0x3f5db3d7, v25
	v_dual_fmac_f32 v25, 0xbf5db3d7, v9 :: v_dual_fmac_f32 v88, -0.5, v12
	v_sub_f32_e32 v12, v21, v13
	s_delay_alu instid0(VALU_DEP_1) | instskip(SKIP_1) | instid1(VALU_DEP_2)
	v_dual_fmamk_f32 v15, v12, 0xbf5db3d7, v88 :: v_dual_add_f32 v8, v21, v13
	v_add_f32_e32 v14, v28, v21
	v_fmac_f32_e32 v28, -0.5, v8
	v_sub_f32_e32 v8, v29, v24
	s_delay_alu instid0(VALU_DEP_1) | instskip(NEXT) | instid1(VALU_DEP_1)
	v_fmamk_f32 v9, v8, 0x3f5db3d7, v28
	v_mul_f32_e32 v35, 0.5, v9
	v_mul_f32_e32 v21, 0xbf5db3d7, v9
	s_delay_alu instid0(VALU_DEP_2) | instskip(SKIP_1) | instid1(VALU_DEP_3)
	v_fmac_f32_e32 v35, 0x3f5db3d7, v15
	v_dual_add_f32 v29, v14, v13 :: v_dual_fmac_f32 v28, 0xbf5db3d7, v8
	v_fmac_f32_e32 v21, 0.5, v15
	s_delay_alu instid0(VALU_DEP_3) | instskip(NEXT) | instid1(VALU_DEP_3)
	v_add_f32_e32 v13, v34, v35
	v_dual_add_f32 v9, v17, v29 :: v_dual_fmac_f32 v88, 0x3f5db3d7, v12
	s_delay_alu instid0(VALU_DEP_4) | instskip(SKIP_2) | instid1(VALU_DEP_3)
	v_mul_f32_e32 v24, 0xbf5db3d7, v28
	v_dual_mul_f32 v28, -0.5, v28 :: v_dual_sub_f32 v17, v17, v29
	v_dual_add_f32 v29, v10, v37 :: v_dual_add_f32 v8, v16, v20
	v_fmac_f32_e32 v24, -0.5, v88
	v_sub_f32_e32 v16, v16, v20
	s_delay_alu instid0(VALU_DEP_2) | instskip(SKIP_4) | instid1(VALU_DEP_2)
	v_add_f32_e32 v14, v19, v24
	v_sub_f32_e32 v20, v19, v24
	v_add_f32_e32 v24, v37, v27
	v_dual_sub_f32 v19, v34, v35 :: v_dual_fmac_f32 v28, 0x3f5db3d7, v88
	v_add_f32_e32 v12, v18, v21
	v_dual_sub_f32 v18, v18, v21 :: v_dual_sub_f32 v21, v25, v28
	v_add_f32_e32 v15, v25, v28
	v_add_f32_e32 v25, v26, v32
	v_fma_f32 v10, -0.5, v24, v10
	v_sub_f32_e32 v24, v26, v32
	v_add_f32_e32 v28, v29, v27
	s_delay_alu instid0(VALU_DEP_4) | instskip(SKIP_1) | instid1(VALU_DEP_4)
	v_dual_add_f32 v26, v11, v26 :: v_dual_fmac_f32 v11, -0.5, v25
	v_sub_f32_e32 v25, v37, v27
	v_fmamk_f32 v29, v24, 0xbf5db3d7, v10
	v_dual_add_f32 v27, v30, v22 :: v_dual_fmac_f32 v10, 0x3f5db3d7, v24
	v_add_f32_e32 v24, v22, v33
	v_sub_f32_e32 v22, v22, v33
	s_delay_alu instid0(VALU_DEP_3) | instskip(NEXT) | instid1(VALU_DEP_3)
	v_dual_add_f32 v33, v27, v33 :: v_dual_fmamk_f32 v34, v25, 0x3f5db3d7, v11
	v_fmac_f32_e32 v30, -0.5, v24
	v_dual_sub_f32 v24, v31, v23 :: v_dual_fmac_f32 v11, 0xbf5db3d7, v25
	s_delay_alu instid0(VALU_DEP_1) | instskip(NEXT) | instid1(VALU_DEP_1)
	v_fmamk_f32 v25, v24, 0x3f5db3d7, v30
	v_dual_mul_f32 v35, 0xbf5db3d7, v25 :: v_dual_add_f32 v32, v26, v32
	v_dual_mul_f32 v37, 0.5, v25 :: v_dual_add_f32 v26, v31, v23
	s_delay_alu instid0(VALU_DEP_1) | instskip(NEXT) | instid1(VALU_DEP_1)
	v_dual_add_f32 v31, v40, v31 :: v_dual_fmac_f32 v40, -0.5, v26
	v_add_f32_e32 v31, v31, v23
	s_delay_alu instid0(VALU_DEP_2) | instskip(SKIP_1) | instid1(VALU_DEP_3)
	v_fmamk_f32 v23, v22, 0xbf5db3d7, v40
	v_fmac_f32_e32 v40, 0x3f5db3d7, v22
	v_add_f32_e32 v22, v28, v31
	v_sub_f32_e32 v28, v28, v31
	s_delay_alu instid0(VALU_DEP_4) | instskip(SKIP_2) | instid1(VALU_DEP_2)
	v_fmac_f32_e32 v37, 0x3f5db3d7, v23
	v_dual_fmac_f32 v30, 0xbf5db3d7, v24 :: v_dual_fmac_f32 v35, 0.5, v23
	v_add_f32_e32 v23, v32, v33
	v_dual_add_f32 v25, v34, v37 :: v_dual_mul_f32 v38, -0.5, v30
	s_delay_alu instid0(VALU_DEP_3) | instskip(NEXT) | instid1(VALU_DEP_2)
	v_dual_add_f32 v24, v29, v35 :: v_dual_sub_f32 v31, v34, v37
	v_fmac_f32_e32 v38, 0x3f5db3d7, v40
	s_delay_alu instid0(VALU_DEP_1) | instskip(SKIP_3) | instid1(VALU_DEP_2)
	v_add_f32_e32 v27, v11, v38
	v_sub_f32_e32 v11, v11, v38
	v_mul_f32_e32 v36, 0xbf5db3d7, v30
	v_dual_sub_f32 v30, v29, v35 :: v_dual_sub_f32 v29, v32, v33
	v_fmac_f32_e32 v36, -0.5, v40
	s_delay_alu instid0(VALU_DEP_1)
	v_add_f32_e32 v26, v10, v36
	v_sub_f32_e32 v10, v10, v36
	ds_store_2addr_b64 v177, v[8:9], v[12:13] offset1:18
	ds_store_2addr_b64 v177, v[14:15], v[16:17] offset0:36 offset1:54
	ds_store_2addr_b64 v177, v[18:19], v[20:21] offset0:72 offset1:90
	ds_store_2addr_b64 v176, v[22:23], v[24:25] offset1:18
	ds_store_2addr_b64 v176, v[26:27], v[28:29] offset0:36 offset1:54
	ds_store_2addr_b64 v176, v[30:31], v[10:11] offset0:72 offset1:90
	s_and_saveexec_b32 s1, s0
	s_cbranch_execz .LBB0_29
; %bb.28:
	v_mul_f32_e32 v8, v7, v78
	v_dual_mul_f32 v9, v3, v82 :: v_dual_mul_f32 v10, v1, v85
	v_mul_f32_e32 v1, v1, v84
	v_mul_f32_e32 v11, v146, v86
	v_dual_mul_f32 v12, v146, v87 :: v_dual_mul_f32 v13, v5, v80
	s_delay_alu instid0(VALU_DEP_4) | instskip(NEXT) | instid1(VALU_DEP_4)
	v_fmac_f32_e32 v10, v0, v84
	v_fma_f32 v14, v0, v85, -v1
	s_delay_alu instid0(VALU_DEP_4)
	v_fma_f32 v11, v145, v87, -v11
	v_fma_f32 v8, v6, v79, -v8
	v_mul_f32_e32 v5, v5, v81
	v_fmac_f32_e32 v12, v145, v86
	v_fma_f32 v0, v4, v81, -v13
	v_add_f32_e32 v13, v14, v11
	v_fma_f32 v9, v2, v83, -v9
	v_fmac_f32_e32 v5, v4, v80
	v_add_f32_e32 v20, v8, v77
	s_delay_alu instid0(VALU_DEP_4) | instskip(SKIP_4) | instid1(VALU_DEP_3)
	v_fma_f32 v4, -0.5, v13, v0
	v_sub_f32_e32 v13, v10, v12
	v_mul_f32_e32 v7, v7, v79
	v_dual_add_f32 v1, v9, v8 :: v_dual_sub_f32 v8, v8, v9
	v_add_f32_e32 v0, v14, v0
	v_dual_fmac_f32 v7, v6, v78 :: v_dual_fmamk_f32 v6, v13, 0xbf5db3d7, v4
	v_dual_fmac_f32 v4, 0x3f5db3d7, v13 :: v_dual_mul_f32 v15, v3, v83
	s_delay_alu instid0(VALU_DEP_4) | instskip(NEXT) | instid1(VALU_DEP_2)
	v_fma_f32 v16, -0.5, v1, v77
	v_dual_mul_f32 v18, 0.5, v4 :: v_dual_fmac_f32 v15, v2, v82
	v_add_f32_e32 v3, v10, v12
	s_delay_alu instid0(VALU_DEP_2) | instskip(NEXT) | instid1(VALU_DEP_1)
	v_sub_f32_e32 v1, v7, v15
	v_fmamk_f32 v19, v1, 0xbf5db3d7, v16
	v_fmac_f32_e32 v16, 0x3f5db3d7, v1
	s_delay_alu instid0(VALU_DEP_4) | instskip(SKIP_4) | instid1(VALU_DEP_3)
	v_fma_f32 v2, -0.5, v3, v5
	v_sub_f32_e32 v3, v14, v11
	v_dual_add_f32 v5, v10, v5 :: v_dual_add_f32 v14, v9, v20
	v_mul_f32_e32 v17, -0.5, v6
	v_mul_f32_e32 v6, 0xbf5db3d7, v6
	v_dual_fmamk_f32 v13, v3, 0x3f5db3d7, v2 :: v_dual_add_f32 v12, v12, v5
	v_add_f32_e32 v21, v15, v7
	v_dual_fmac_f32 v2, 0xbf5db3d7, v3 :: v_dual_add_f32 v11, v11, v0
	v_add_f32_e32 v0, v7, v76
	s_delay_alu instid0(VALU_DEP_4) | instskip(NEXT) | instid1(VALU_DEP_4)
	v_fmac_f32_e32 v6, -0.5, v13
	v_fma_f32 v20, -0.5, v21, v76
	s_delay_alu instid0(VALU_DEP_4) | instskip(NEXT) | instid1(VALU_DEP_2)
	v_fmac_f32_e32 v18, 0x3f5db3d7, v2
	v_dual_add_f32 v10, v15, v0 :: v_dual_fmamk_f32 v21, v8, 0x3f5db3d7, v20
	v_fmac_f32_e32 v17, 0x3f5db3d7, v13
	v_mul_f32_e32 v13, 0xbf5db3d7, v4
	s_delay_alu instid0(VALU_DEP_3)
	v_dual_sub_f32 v3, v16, v18 :: v_dual_sub_f32 v4, v10, v12
	v_fmac_f32_e32 v20, 0xbf5db3d7, v8
	v_add_f32_e32 v10, v10, v12
	v_dual_sub_f32 v0, v21, v6 :: v_dual_sub_f32 v1, v19, v17
	v_add_f32_e32 v6, v21, v6
	v_dual_fmac_f32 v13, 0.5, v2 :: v_dual_and_b32 v2, 0xffff, v175
	v_sub_f32_e32 v5, v14, v11
	v_add_f32_e32 v9, v16, v18
	s_delay_alu instid0(VALU_DEP_3) | instskip(NEXT) | instid1(VALU_DEP_4)
	v_dual_add_f32 v11, v14, v11 :: v_dual_add_f32 v8, v20, v13
	v_lshlrev_b32_e32 v12, 3, v2
	v_sub_f32_e32 v2, v20, v13
	v_add_f32_e32 v7, v19, v17
	ds_store_2addr_b64 v12, v[10:11], v[8:9] offset1:18
	ds_store_2addr_b64 v12, v[6:7], v[4:5] offset0:36 offset1:54
	ds_store_2addr_b64 v12, v[2:3], v[0:1] offset0:72 offset1:90
.LBB0_29:
	s_or_b32 exec_lo, exec_lo, s1
	s_waitcnt lgkmcnt(0)
	s_barrier
	buffer_gl0_inv
	ds_load_2addr_b64 v[3:6], v163 offset1:108
	v_add_nc_u32_e32 v2, 0x400, v163
	v_add_nc_u32_e32 v35, 0xc00, v163
	s_mov_b32 s2, 0xbda12f68
	s_mov_b32 s3, 0x3f42f684
	s_mul_hi_u32 s1, s4, 0x240
	s_waitcnt lgkmcnt(0)
	v_mul_f32_e32 v40, v73, v5
	v_mul_f32_e32 v39, v73, v6
	ds_load_2addr_b64 v[7:10], v2 offset0:88 offset1:196
	ds_load_2addr_b64 v[11:14], v35 offset0:48 offset1:156
	v_add_nc_u32_e32 v36, 0x1000, v163
	v_add_nc_u32_e32 v0, 0x1800, v163
	;; [unrolled: 1-line block ×3, first 2 shown]
	v_fmac_f32_e32 v39, v72, v5
	v_add_nc_u32_e32 v1, 0x2800, v163
	v_add_nc_u32_e32 v38, 0x2c00, v163
	v_fma_f32 v5, v72, v6, -v40
	s_waitcnt lgkmcnt(1)
	v_mul_f32_e32 v41, v65, v10
	s_waitcnt lgkmcnt(0)
	v_mul_f32_e32 v43, v67, v12
	ds_load_2addr_b64 v[15:18], v36 offset0:136 offset1:244
	ds_load_2addr_b64 v[19:22], v0 offset0:96 offset1:204
	v_mul_f32_e32 v6, v75, v8
	v_dual_mul_f32 v40, v75, v7 :: v_dual_fmac_f32 v41, v64, v9
	v_mul_f32_e32 v42, v65, v9
	ds_load_2addr_b64 v[23:26], v37 offset0:56 offset1:164
	ds_load_2addr_b64 v[27:30], v1 offset0:16 offset1:124
	;; [unrolled: 1-line block ×3, first 2 shown]
	v_dual_mul_f32 v44, v67, v11 :: v_dual_mul_f32 v9, v57, v14
	v_fmac_f32_e32 v6, v74, v7
	v_fma_f32 v7, v74, v8, -v40
	v_fma_f32 v8, v64, v10, -v42
	v_dual_mul_f32 v10, v57, v13 :: v_dual_fmac_f32 v43, v66, v11
	v_fma_f32 v11, v66, v12, -v44
	v_fmac_f32_e32 v9, v56, v13
	s_delay_alu instid0(VALU_DEP_3) | instskip(SKIP_3) | instid1(VALU_DEP_2)
	v_fma_f32 v10, v56, v14, -v10
	s_waitcnt lgkmcnt(4)
	v_mul_f32_e32 v12, v59, v16
	v_dual_mul_f32 v13, v59, v15 :: v_dual_mul_f32 v14, v49, v18
	v_dual_fmac_f32 v12, v58, v15 :: v_dual_mul_f32 v15, v49, v17
	s_delay_alu instid0(VALU_DEP_2) | instskip(NEXT) | instid1(VALU_DEP_3)
	v_fma_f32 v13, v58, v16, -v13
	v_fmac_f32_e32 v14, v48, v17
	s_waitcnt lgkmcnt(3)
	v_dual_mul_f32 v16, v51, v19 :: v_dual_mul_f32 v17, v69, v22
	v_mul_f32_e32 v40, v51, v20
	v_fma_f32 v15, v48, v18, -v15
	s_delay_alu instid0(VALU_DEP_2)
	v_dual_fmac_f32 v17, v68, v21 :: v_dual_fmac_f32 v40, v50, v19
	s_waitcnt lgkmcnt(2)
	v_dual_mul_f32 v19, v71, v24 :: v_dual_mul_f32 v18, v69, v21
	v_mul_f32_e32 v21, v61, v26
	v_fma_f32 v16, v50, v20, -v16
	v_mul_f32_e32 v20, v71, v23
	s_delay_alu instid0(VALU_DEP_4)
	v_fmac_f32_e32 v19, v70, v23
	v_fma_f32 v18, v68, v22, -v18
	v_fmac_f32_e32 v21, v60, v25
	s_waitcnt lgkmcnt(1)
	v_mul_f32_e32 v23, v63, v28
	v_fma_f32 v20, v70, v24, -v20
	v_mul_f32_e32 v22, v61, v25
	v_dual_mul_f32 v24, v63, v27 :: v_dual_mul_f32 v25, v53, v30
	s_delay_alu instid0(VALU_DEP_4)
	v_fmac_f32_e32 v23, v62, v27
	s_waitcnt lgkmcnt(0)
	v_mul_f32_e32 v27, v55, v32
	v_fma_f32 v22, v60, v26, -v22
	v_mul_f32_e32 v26, v53, v29
	v_fma_f32 v24, v62, v28, -v24
	v_dual_fmac_f32 v25, v52, v29 :: v_dual_mul_f32 v28, v55, v31
	v_dual_mul_f32 v29, v158, v34 :: v_dual_sub_f32 v16, v4, v16
	s_delay_alu instid0(VALU_DEP_3) | instskip(NEXT) | instid1(VALU_DEP_3)
	v_dual_fmac_f32 v27, v54, v31 :: v_dual_sub_f32 v24, v11, v24
	v_fma_f32 v28, v54, v32, -v28
	v_fma_f32 v26, v52, v30, -v26
	v_dual_mul_f32 v30, v158, v33 :: v_dual_sub_f32 v31, v3, v40
	v_dual_fmac_f32 v29, v157, v33 :: v_dual_sub_f32 v20, v7, v20
	s_delay_alu instid0(VALU_DEP_4)
	v_dual_sub_f32 v23, v43, v23 :: v_dual_sub_f32 v28, v13, v28
	v_dual_sub_f32 v19, v6, v19 :: v_dual_sub_f32 v18, v5, v18
	;; [unrolled: 1-line block ×3, first 2 shown]
	v_fma_f32 v30, v157, v34, -v30
	v_fma_f32 v3, v3, 2.0, -v31
	v_fma_f32 v32, v43, 2.0, -v23
	;; [unrolled: 1-line block ×3, first 2 shown]
	v_dual_sub_f32 v17, v39, v17 :: v_dual_sub_f32 v22, v8, v22
	v_fma_f32 v12, v12, 2.0, -v27
	v_fma_f32 v13, v13, 2.0, -v28
	v_dual_sub_f32 v25, v9, v25 :: v_dual_sub_f32 v30, v15, v30
	v_dual_sub_f32 v21, v41, v21 :: v_dual_sub_f32 v32, v3, v32
	v_dual_sub_f32 v29, v14, v29 :: v_dual_add_f32 v24, v31, v24
	v_dual_sub_f32 v23, v16, v23 :: v_dual_add_f32 v28, v19, v28
	v_sub_f32_e32 v27, v20, v27
	v_fma_f32 v4, v4, 2.0, -v16
	v_fma_f32 v6, v6, 2.0, -v19
	;; [unrolled: 1-line block ×6, first 2 shown]
	v_add_f32_e32 v26, v17, v26
	v_fma_f32 v34, v41, 2.0, -v21
	v_fma_f32 v14, v14, 2.0, -v29
	;; [unrolled: 1-line block ×6, first 2 shown]
	v_dual_sub_f32 v11, v4, v11 :: v_dual_sub_f32 v12, v6, v12
	v_fma_f32 v5, v5, 2.0, -v18
	v_fma_f32 v8, v8, 2.0, -v22
	;; [unrolled: 1-line block ×3, first 2 shown]
	v_dual_sub_f32 v9, v33, v9 :: v_dual_sub_f32 v14, v34, v14
	v_dual_sub_f32 v29, v22, v29 :: v_dual_fmamk_f32 v42, v20, 0xbf3504f3, v16
	v_fmamk_f32 v39, v19, 0xbf3504f3, v31
	v_fma_f32 v3, v3, 2.0, -v32
	v_fma_f32 v6, v6, 2.0, -v12
	v_dual_sub_f32 v25, v18, v25 :: v_dual_add_f32 v30, v21, v30
	v_dual_sub_f32 v13, v7, v13 :: v_dual_sub_f32 v10, v5, v10
	v_fma_f32 v33, v33, 2.0, -v9
	s_delay_alu instid0(VALU_DEP_4)
	v_dual_sub_f32 v15, v8, v15 :: v_dual_sub_f32 v40, v3, v6
	v_fma_f32 v34, v34, 2.0, -v14
	v_fmac_f32_e32 v42, 0xbf3504f3, v19
	v_fmac_f32_e32 v39, 0x3f3504f3, v20
	v_fma_f32 v18, v18, 2.0, -v25
	v_fma_f32 v6, v22, 2.0, -v29
	v_fmamk_f32 v45, v27, 0x3f3504f3, v23
	v_fma_f32 v4, v4, 2.0, -v11
	v_fma_f32 v7, v7, 2.0, -v13
	;; [unrolled: 1-line block ×7, first 2 shown]
	v_add_f32_e32 v31, v32, v13
	v_dual_fmac_f32 v45, 0xbf3504f3, v28 :: v_dual_fmamk_f32 v46, v6, 0xbf3504f3, v18
	v_dual_sub_f32 v41, v4, v7 :: v_dual_sub_f32 v44, v11, v12
	v_fmamk_f32 v43, v28, 0x3f3504f3, v24
	v_fmamk_f32 v28, v21, 0xbf3504f3, v17
	v_fma_f32 v22, v32, 2.0, -v31
	v_sub_f32_e32 v32, v33, v34
	v_sub_f32_e32 v34, v5, v8
	v_dual_fmac_f32 v46, 0xbf3504f3, v21 :: v_dual_add_f32 v47, v9, v15
	v_fma_f32 v7, v3, 2.0, -v40
	v_fma_f32 v20, v4, 2.0, -v41
	;; [unrolled: 1-line block ×4, first 2 shown]
	v_fmamk_f32 v33, v30, 0x3f3504f3, v26
	v_dual_fmac_f32 v43, 0x3f3504f3, v27 :: v_dual_sub_f32 v48, v10, v14
	v_fmac_f32_e32 v28, 0x3f3504f3, v6
	v_fma_f32 v14, v9, 2.0, -v47
	v_dual_fmamk_f32 v49, v29, 0x3f3504f3, v25 :: v_dual_sub_f32 v4, v20, v4
	v_fmac_f32_e32 v33, 0x3f3504f3, v29
	v_fma_f32 v16, v16, 2.0, -v42
	v_fma_f32 v27, v11, 2.0, -v44
	;; [unrolled: 1-line block ×5, first 2 shown]
	v_fmamk_f32 v9, v14, 0xbf3504f3, v22
	v_fma_f32 v8, v20, 2.0, -v4
	v_sub_f32_e32 v20, v41, v32
	v_fma_f32 v17, v26, 2.0, -v33
	v_fmamk_f32 v10, v15, 0xbf3504f3, v27
	v_fmamk_f32 v26, v48, 0x3f3504f3, v44
	v_fmac_f32_e32 v49, 0xbf3504f3, v30
	v_dual_sub_f32 v3, v7, v3 :: v_dual_fmamk_f32 v6, v12, 0xbf6c835e, v16
	v_fmamk_f32 v5, v11, 0xbf6c835e, v19
	v_fmac_f32_e32 v9, 0x3f3504f3, v15
	v_fma_f32 v24, v24, 2.0, -v43
	v_fma_f32 v23, v23, 2.0, -v45
	v_fmac_f32_e32 v26, 0xbf3504f3, v47
	v_fma_f32 v18, v25, 2.0, -v49
	v_fmac_f32_e32 v5, 0x3ec3ef15, v12
	v_fmac_f32_e32 v6, 0xbec3ef15, v11
	;; [unrolled: 1-line block ×3, first 2 shown]
	v_fma_f32 v15, v22, 2.0, -v9
	v_fmamk_f32 v22, v46, 0x3ec3ef15, v42
	v_dual_fmamk_f32 v11, v17, 0xbec3ef15, v24 :: v_dual_fmamk_f32 v12, v18, 0xbec3ef15, v23
	v_fmamk_f32 v21, v28, 0x3ec3ef15, v39
	v_fma_f32 v13, v19, 2.0, -v5
	v_add_f32_e32 v19, v40, v34
	v_fma_f32 v14, v16, 2.0, -v6
	v_fma_f32 v16, v27, 2.0, -v10
	v_fmac_f32_e32 v22, 0xbf6c835e, v28
	v_fmamk_f32 v25, v47, 0x3f3504f3, v31
	v_fmamk_f32 v27, v33, 0x3f6c835e, v43
	;; [unrolled: 1-line block ×3, first 2 shown]
	v_fmac_f32_e32 v11, 0x3f6c835e, v18
	v_fmac_f32_e32 v12, 0xbf6c835e, v17
	;; [unrolled: 1-line block ×6, first 2 shown]
	v_fma_f32 v7, v7, 2.0, -v3
	v_fma_f32 v17, v24, 2.0, -v11
	;; [unrolled: 1-line block ×11, first 2 shown]
	ds_store_2addr_b64 v163, v[7:8], v[13:14] offset1:108
	ds_store_2addr_b64 v2, v[15:16], v[17:18] offset0:88 offset1:196
	ds_store_2addr_b64 v35, v[23:24], v[29:30] offset0:48 offset1:156
	;; [unrolled: 1-line block ×7, first 2 shown]
	s_waitcnt lgkmcnt(0)
	s_barrier
	buffer_gl0_inv
	ds_load_2addr_b64 v[3:6], v163 offset1:108
	v_mad_u64_u32 v[29:30], null, s4, v164, 0
	s_waitcnt lgkmcnt(0)
	v_mul_f32_e32 v7, v138, v4
	v_mul_f32_e32 v8, v138, v3
	;; [unrolled: 1-line block ×4, first 2 shown]
	s_delay_alu instid0(VALU_DEP_4) | instskip(NEXT) | instid1(VALU_DEP_4)
	v_fmac_f32_e32 v7, v137, v3
	v_fma_f32 v8, v137, v4, -v8
	s_delay_alu instid0(VALU_DEP_4) | instskip(NEXT) | instid1(VALU_DEP_3)
	v_fmac_f32_e32 v25, v133, v5
	v_cvt_f64_f32_e32 v[3:4], v7
	s_delay_alu instid0(VALU_DEP_3)
	v_cvt_f64_f32_e32 v[15:16], v8
	ds_load_2addr_b64 v[7:10], v35 offset0:48 offset1:192
	ds_load_2addr_b64 v[11:14], v37 offset0:128 offset1:236
	v_cvt_f64_f32_e32 v[25:26], v25
	ds_load_b64 v[43:44], v163 offset:12672
	s_waitcnt lgkmcnt(2)
	v_mul_f32_e32 v19, v144, v10
	s_waitcnt lgkmcnt(1)
	v_dual_mul_f32 v20, v144, v9 :: v_dual_mul_f32 v21, v142, v11
	v_mul_f32_e32 v51, v115, v8
	s_waitcnt lgkmcnt(0)
	v_mul_f32_e32 v53, v128, v43
	v_fmac_f32_e32 v19, v143, v9
	s_delay_alu instid0(VALU_DEP_3) | instskip(NEXT) | instid1(VALU_DEP_3)
	v_fmac_f32_e32 v51, v114, v7
	v_fma_f32 v55, v127, v44, -v53
	s_delay_alu instid0(VALU_DEP_2) | instskip(NEXT) | instid1(VALU_DEP_2)
	v_cvt_f64_f32_e32 v[51:52], v51
	v_cvt_f64_f32_e32 v[55:56], v55
	v_mul_f64 v[17:18], v[3:4], s[2:3]
	v_mul_f64 v[15:16], v[15:16], s[2:3]
	v_mul_f32_e32 v4, v142, v12
	v_fma_f32 v3, v143, v10, -v20
	v_cvt_f64_f32_e32 v[9:10], v19
	s_delay_alu instid0(VALU_DEP_3) | instskip(NEXT) | instid1(VALU_DEP_3)
	v_fmac_f32_e32 v4, v141, v11
	v_cvt_f64_f32_e32 v[19:20], v3
	v_fma_f32 v3, v141, v12, -v21
	s_delay_alu instid0(VALU_DEP_3) | instskip(NEXT) | instid1(VALU_DEP_2)
	v_cvt_f64_f32_e32 v[11:12], v4
	v_cvt_f64_f32_e32 v[21:22], v3
	v_fma_f32 v3, v133, v6, -v23
	v_mad_u64_u32 v[23:24], null, s6, v116, 0
	s_delay_alu instid0(VALU_DEP_2) | instskip(SKIP_1) | instid1(VALU_DEP_3)
	v_cvt_f64_f32_e32 v[27:28], v3
	v_add_nc_u32_e32 v3, 0x1400, v163
	v_mad_u64_u32 v[31:32], null, s7, v116, v[24:25]
	ds_load_2addr_b64 v[3:6], v3 offset0:44 offset1:152
	v_mul_f64 v[25:26], v[25:26], s[2:3]
	v_mad_u64_u32 v[32:33], null, s5, v164, v[30:31]
	v_mov_b32_e32 v24, v31
	v_cvt_f32_f64_e32 v17, v[17:18]
	v_cvt_f32_f64_e32 v18, v[15:16]
	s_delay_alu instid0(VALU_DEP_4) | instskip(SKIP_2) | instid1(VALU_DEP_3)
	v_mov_b32_e32 v30, v32
	v_mul_f64 v[15:16], v[9:10], s[2:3]
	v_lshlrev_b64 v[9:10], 3, v[23:24]
	v_lshlrev_b64 v[23:24], 3, v[29:30]
	v_mul_f64 v[19:20], v[19:20], s[2:3]
	s_waitcnt lgkmcnt(0)
	v_mul_f32_e32 v32, v140, v3
	s_delay_alu instid0(VALU_DEP_4)
	v_add_co_u32 v59, s0, s8, v9
	v_mul_f64 v[29:30], v[11:12], s[2:3]
	v_mul_f32_e32 v11, v136, v14
	v_mul_f64 v[21:22], v[21:22], s[2:3]
	v_add_co_ci_u32_e64 v60, s0, s9, v10, s0
	v_add_co_u32 v23, s0, v59, v23
	s_delay_alu instid0(VALU_DEP_4) | instskip(NEXT) | instid1(VALU_DEP_3)
	v_fmac_f32_e32 v11, v135, v13
	v_add_co_ci_u32_e64 v24, s0, v60, v24, s0
	v_mul_f64 v[27:28], v[27:28], s[2:3]
	s_mul_i32 s0, s5, 0x240
	s_delay_alu instid0(VALU_DEP_3)
	v_cvt_f64_f32_e32 v[35:36], v11
	ds_load_2addr_b64 v[9:12], v2 offset0:88 offset1:196
	v_mul_f32_e32 v31, v140, v4
	s_add_i32 s1, s1, s0
	s_mul_i32 s0, s4, 0x240
	v_cvt_f32_f64_e32 v25, v[25:26]
	s_lshl_b64 s[6:7], s[0:1], 3
	v_fmac_f32_e32 v31, v139, v3
	v_fma_f32 v3, v139, v4, -v32
	s_mul_i32 s1, s5, 0xfffff160
	s_delay_alu instid0(VALU_DEP_2) | instskip(NEXT) | instid1(VALU_DEP_2)
	v_cvt_f64_f32_e32 v[31:32], v31
	v_cvt_f64_f32_e32 v[33:34], v3
	v_mad_u64_u32 v[3:4], null, s4, v165, 0
	global_store_b64 v[23:24], v[17:18], off
	v_add_co_u32 v23, s0, v23, s6
	s_delay_alu instid0(VALU_DEP_1) | instskip(SKIP_3) | instid1(VALU_DEP_4)
	v_add_co_ci_u32_e64 v24, s0, s7, v24, s0
	v_cvt_f32_f64_e32 v19, v[19:20]
	v_mad_u64_u32 v[17:18], null, s5, v165, v[4:5]
	v_cvt_f32_f64_e32 v18, v[15:16]
	v_mad_u64_u32 v[57:58], null, 0xfffff160, s4, v[23:24]
	v_cvt_f32_f64_e32 v20, v[29:30]
	v_cvt_f32_f64_e32 v21, v[21:22]
	v_mul_f32_e32 v22, v130, v6
	s_waitcnt lgkmcnt(0)
	v_dual_mov_b32 v4, v17 :: v_dual_mul_f32 v17, v124, v10
	s_delay_alu instid0(VALU_DEP_2) | instskip(NEXT) | instid1(VALU_DEP_2)
	v_fmac_f32_e32 v22, v129, v5
	v_lshlrev_b64 v[29:30], 3, v[3:4]
	ds_load_2addr_b64 v[1:4], v1 offset0:88 offset1:196
	v_cvt_f32_f64_e32 v26, v[27:28]
	v_cvt_f64_f32_e32 v[39:40], v22
	v_mul_f32_e32 v22, v122, v12
	v_add_co_u32 v29, s0, v59, v29
	s_delay_alu instid0(VALU_DEP_1) | instskip(NEXT) | instid1(VALU_DEP_3)
	v_add_co_ci_u32_e64 v30, s0, v60, v30, s0
	v_fmac_f32_e32 v22, v121, v11
	s_sub_i32 s0, s1, s4
	s_mul_i32 s1, s5, 0xfffffbec
	v_add_nc_u32_e32 v58, s0, v58
	s_delay_alu instid0(VALU_DEP_2)
	v_cvt_f64_f32_e32 v[41:42], v22
	v_mul_f64 v[27:28], v[31:32], s[2:3]
	v_mul_f64 v[31:32], v[33:34], s[2:3]
	v_mul_f64 v[33:34], v[35:36], s[2:3]
	s_waitcnt lgkmcnt(0)
	v_mul_f32_e32 v22, v120, v4
	v_mul_f32_e32 v47, v120, v3
	s_delay_alu instid0(VALU_DEP_2) | instskip(NEXT) | instid1(VALU_DEP_2)
	v_dual_mul_f32 v13, v136, v13 :: v_dual_fmac_f32 v22, v119, v3
	v_fma_f32 v4, v119, v4, -v47
	s_delay_alu instid0(VALU_DEP_2)
	v_fma_f32 v13, v135, v14, -v13
	global_store_b64 v[23:24], v[18:19], off
	v_add_co_u32 v23, s0, v57, s6
	v_cvt_f64_f32_e32 v[47:48], v22
	v_cvt_f64_f32_e32 v[49:50], v4
	v_mul_f32_e32 v4, v115, v7
	v_dual_fmac_f32 v17, v123, v9 :: v_dual_mul_f32 v22, v128, v44
	v_mul_f32_e32 v15, v124, v9
	v_add_co_ci_u32_e64 v24, s0, s7, v58, s0
	s_delay_alu instid0(VALU_DEP_3) | instskip(NEXT) | instid1(VALU_DEP_4)
	v_cvt_f64_f32_e32 v[35:36], v17
	v_fmac_f32_e32 v22, v127, v43
	s_delay_alu instid0(VALU_DEP_4)
	v_fma_f32 v37, v123, v10, -v15
	v_cvt_f64_f32_e32 v[9:10], v13
	ds_load_2addr_b64 v[13:16], v0 offset0:132 offset1:240
	v_dual_mul_f32 v0, v130, v5 :: v_dual_mul_f32 v5, v132, v2
	v_mul_f32_e32 v17, v132, v1
	v_cvt_f64_f32_e32 v[37:38], v37
	v_fma_f32 v4, v114, v8, -v4
	s_delay_alu instid0(VALU_DEP_4)
	v_fma_f32 v0, v129, v6, -v0
	v_dual_mul_f32 v6, v122, v11 :: v_dual_fmac_f32 v5, v131, v1
	v_fma_f32 v2, v131, v2, -v17
	s_clause 0x1
	global_store_b64 v[29:30], v[20:21], off
	global_store_b64 v[57:58], v[25:26], off
	v_cvt_f64_f32_e32 v[0:1], v0
	v_fma_f32 v17, v121, v12, -v6
	v_cvt_f64_f32_e32 v[5:6], v5
	v_cvt_f64_f32_e32 v[11:12], v2
	v_cvt_f32_f64_e32 v19, v[27:28]
	v_mul_f64 v[25:26], v[41:42], s[2:3]
	v_cvt_f64_f32_e32 v[45:46], v17
	v_cvt_f32_f64_e32 v20, v[31:32]
	s_waitcnt lgkmcnt(0)
	v_mul_f32_e32 v2, v118, v14
	v_mul_f32_e32 v17, v118, v13
	s_delay_alu instid0(VALU_DEP_2) | instskip(NEXT) | instid1(VALU_DEP_2)
	v_dual_mul_f32 v7, v126, v15 :: v_dual_fmac_f32 v2, v117, v13
	v_fma_f32 v13, v117, v14, -v17
	v_mul_f32_e32 v17, v126, v16
	s_delay_alu instid0(VALU_DEP_3)
	v_fma_f32 v54, v125, v16, -v7
	v_cvt_f64_f32_e32 v[7:8], v4
	v_cvt_f64_f32_e32 v[2:3], v2
	;; [unrolled: 1-line block ×3, first 2 shown]
	v_fmac_f32_e32 v17, v125, v15
	v_cvt_f64_f32_e32 v[43:44], v54
	v_cvt_f64_f32_e32 v[53:54], v22
	v_mul_f64 v[35:36], v[35:36], s[2:3]
	v_mul_f64 v[21:22], v[39:40], s[2:3]
	v_cvt_f64_f32_e32 v[15:16], v17
	v_mul_f64 v[9:10], v[9:10], s[2:3]
	v_mul_f64 v[29:30], v[47:48], s[2:3]
	;; [unrolled: 1-line block ×9, first 2 shown]
	global_store_b64 v[23:24], v[19:20], off
	v_mul_f64 v[6:7], v[7:8], s[2:3]
	v_mul_f64 v[2:3], v[2:3], s[2:3]
	;; [unrolled: 1-line block ×3, first 2 shown]
	v_cvt_f32_f64_e32 v8, v[33:34]
	v_mul_f64 v[39:40], v[43:44], s[2:3]
	v_mul_f64 v[41:42], v[53:54], s[2:3]
	;; [unrolled: 1-line block ×3, first 2 shown]
	v_add_co_u32 v33, s0, v23, s6
	v_mul_f64 v[15:16], v[15:16], s[2:3]
	v_cvt_f32_f64_e32 v9, v[9:10]
	v_cvt_f32_f64_e32 v35, v[35:36]
	v_add_co_ci_u32_e64 v34, s0, s7, v24, s0
	v_cvt_f32_f64_e32 v36, v[17:18]
	s_mul_hi_u32 s0, s4, 0xfffffbec
	v_cvt_f32_f64_e32 v21, v[21:22]
	s_sub_i32 s0, s0, s4
	v_cvt_f32_f64_e32 v10, v[25:26]
	s_add_i32 s1, s0, s1
	v_cvt_f32_f64_e32 v22, v[0:1]
	s_mul_i32 s0, s4, 0xfffffbec
	v_cvt_f32_f64_e32 v0, v[4:5]
	s_lshl_b64 s[4:5], s[0:1], 3
	v_cvt_f32_f64_e32 v1, v[11:12]
	v_add_co_u32 v17, s0, v33, s4
	s_delay_alu instid0(VALU_DEP_1) | instskip(SKIP_1) | instid1(VALU_DEP_3)
	v_add_co_ci_u32_e64 v18, s0, s5, v34, s0
	v_cvt_f32_f64_e32 v11, v[27:28]
	v_add_co_u32 v4, s0, v17, s6
	s_delay_alu instid0(VALU_DEP_1) | instskip(SKIP_1) | instid1(VALU_DEP_3)
	v_add_co_ci_u32_e64 v5, s0, s7, v18, s0
	v_cvt_f32_f64_e32 v12, v[29:30]
	v_add_co_u32 v27, s0, v4, s6
	v_cvt_f32_f64_e32 v25, v[37:38]
	v_cvt_f32_f64_e32 v26, v[6:7]
	;; [unrolled: 1-line block ×6, first 2 shown]
	v_add_co_ci_u32_e64 v28, s0, s7, v5, s0
	v_cvt_f32_f64_e32 v14, v[41:42]
	v_add_co_u32 v19, s0, v27, s4
	v_cvt_f32_f64_e32 v6, v[15:16]
	v_cvt_f32_f64_e32 v15, v[43:44]
	v_add_co_ci_u32_e64 v20, s0, s5, v28, s0
	global_store_b64 v[33:34], v[8:9], off
	v_add_co_u32 v8, s0, v19, s6
	s_delay_alu instid0(VALU_DEP_1) | instskip(SKIP_2) | instid1(VALU_DEP_1)
	v_add_co_ci_u32_e64 v9, s0, s7, v20, s0
	global_store_b64 v[17:18], v[35:36], off
	v_add_co_u32 v16, s0, v8, s6
	v_add_co_ci_u32_e64 v17, s0, s7, v9, s0
	global_store_b64 v[4:5], v[21:22], off
	v_add_co_u32 v4, s0, v16, s4
	s_delay_alu instid0(VALU_DEP_1) | instskip(SKIP_2) | instid1(VALU_DEP_1)
	v_add_co_ci_u32_e64 v5, s0, s5, v17, s0
	global_store_b64 v[27:28], v[0:1], off
	v_add_co_u32 v21, s0, v4, s6
	v_add_co_ci_u32_e64 v22, s0, s7, v5, s0
	global_store_b64 v[19:20], v[10:11], off
	v_add_co_u32 v0, s0, v21, s6
	s_delay_alu instid0(VALU_DEP_1)
	v_add_co_ci_u32_e64 v1, s0, s7, v22, s0
	global_store_b64 v[8:9], v[2:3], off
	global_store_b64 v[16:17], v[12:13], off
	;; [unrolled: 1-line block ×5, first 2 shown]
	s_and_b32 exec_lo, exec_lo, vcc_lo
	s_cbranch_execz .LBB0_31
; %bb.30:
	global_load_b64 v[6:7], v[112:113], off offset:224
	v_add_nc_u32_e32 v2, 0xe0, v163
	v_add_co_u32 v0, vcc_lo, v0, s4
	v_add_co_ci_u32_e32 v1, vcc_lo, s5, v1, vcc_lo
	ds_load_2addr_stride64_b64 v[2:5], v2 offset0:8 offset1:17
	s_waitcnt vmcnt(0) lgkmcnt(0)
	v_mul_f32_e32 v8, v3, v7
	v_mul_f32_e32 v7, v2, v7
	s_delay_alu instid0(VALU_DEP_2) | instskip(NEXT) | instid1(VALU_DEP_2)
	v_fmac_f32_e32 v8, v2, v6
	v_fma_f32 v6, v6, v3, -v7
	s_delay_alu instid0(VALU_DEP_2) | instskip(NEXT) | instid1(VALU_DEP_2)
	v_cvt_f64_f32_e32 v[2:3], v8
	v_cvt_f64_f32_e32 v[6:7], v6
	s_delay_alu instid0(VALU_DEP_2) | instskip(NEXT) | instid1(VALU_DEP_2)
	v_mul_f64 v[2:3], v[2:3], s[2:3]
	v_mul_f64 v[6:7], v[6:7], s[2:3]
	s_delay_alu instid0(VALU_DEP_2) | instskip(NEXT) | instid1(VALU_DEP_2)
	v_cvt_f32_f64_e32 v2, v[2:3]
	v_cvt_f32_f64_e32 v3, v[6:7]
	global_store_b64 v[0:1], v[2:3], off
	global_load_b64 v[2:3], v[108:109], off offset:736
	v_add_co_u32 v0, vcc_lo, v0, s6
	v_add_co_ci_u32_e32 v1, vcc_lo, s7, v1, vcc_lo
	s_waitcnt vmcnt(0)
	v_mul_f32_e32 v6, v5, v3
	v_mul_f32_e32 v3, v4, v3
	s_delay_alu instid0(VALU_DEP_2) | instskip(NEXT) | instid1(VALU_DEP_2)
	v_fmac_f32_e32 v6, v4, v2
	v_fma_f32 v4, v2, v5, -v3
	s_delay_alu instid0(VALU_DEP_2) | instskip(NEXT) | instid1(VALU_DEP_2)
	v_cvt_f64_f32_e32 v[2:3], v6
	v_cvt_f64_f32_e32 v[4:5], v4
	s_delay_alu instid0(VALU_DEP_2) | instskip(NEXT) | instid1(VALU_DEP_2)
	v_mul_f64 v[2:3], v[2:3], s[2:3]
	v_mul_f64 v[4:5], v[4:5], s[2:3]
	s_delay_alu instid0(VALU_DEP_2) | instskip(NEXT) | instid1(VALU_DEP_2)
	v_cvt_f32_f64_e32 v2, v[2:3]
	v_cvt_f32_f64_e32 v3, v[4:5]
	ds_load_b64 v[4:5], v163 offset:13536
	global_store_b64 v[0:1], v[2:3], off
	global_load_b64 v[2:3], v[110:111], off offset:1248
	v_add_co_u32 v0, vcc_lo, v0, s6
	v_add_co_ci_u32_e32 v1, vcc_lo, s7, v1, vcc_lo
	s_waitcnt vmcnt(0) lgkmcnt(0)
	v_mul_f32_e32 v6, v5, v3
	v_mul_f32_e32 v3, v4, v3
	s_delay_alu instid0(VALU_DEP_2) | instskip(NEXT) | instid1(VALU_DEP_2)
	v_fmac_f32_e32 v6, v4, v2
	v_fma_f32 v4, v2, v5, -v3
	s_delay_alu instid0(VALU_DEP_2) | instskip(NEXT) | instid1(VALU_DEP_2)
	v_cvt_f64_f32_e32 v[2:3], v6
	v_cvt_f64_f32_e32 v[4:5], v4
	s_delay_alu instid0(VALU_DEP_2) | instskip(NEXT) | instid1(VALU_DEP_2)
	v_mul_f64 v[2:3], v[2:3], s[2:3]
	v_mul_f64 v[4:5], v[4:5], s[2:3]
	s_delay_alu instid0(VALU_DEP_2) | instskip(NEXT) | instid1(VALU_DEP_2)
	v_cvt_f32_f64_e32 v2, v[2:3]
	v_cvt_f32_f64_e32 v3, v[4:5]
	global_store_b64 v[0:1], v[2:3], off
.LBB0_31:
	s_nop 0
	s_sendmsg sendmsg(MSG_DEALLOC_VGPRS)
	s_endpgm
	.section	.rodata,"a",@progbits
	.p2align	6, 0x0
	.amdhsa_kernel bluestein_single_fwd_len1728_dim1_sp_op_CI_CI
		.amdhsa_group_segment_fixed_size 13824
		.amdhsa_private_segment_fixed_size 0
		.amdhsa_kernarg_size 104
		.amdhsa_user_sgpr_count 15
		.amdhsa_user_sgpr_dispatch_ptr 0
		.amdhsa_user_sgpr_queue_ptr 0
		.amdhsa_user_sgpr_kernarg_segment_ptr 1
		.amdhsa_user_sgpr_dispatch_id 0
		.amdhsa_user_sgpr_private_segment_size 0
		.amdhsa_wavefront_size32 1
		.amdhsa_uses_dynamic_stack 0
		.amdhsa_enable_private_segment 0
		.amdhsa_system_sgpr_workgroup_id_x 1
		.amdhsa_system_sgpr_workgroup_id_y 0
		.amdhsa_system_sgpr_workgroup_id_z 0
		.amdhsa_system_sgpr_workgroup_info 0
		.amdhsa_system_vgpr_workitem_id 0
		.amdhsa_next_free_vgpr 230
		.amdhsa_next_free_sgpr 18
		.amdhsa_reserve_vcc 1
		.amdhsa_float_round_mode_32 0
		.amdhsa_float_round_mode_16_64 0
		.amdhsa_float_denorm_mode_32 3
		.amdhsa_float_denorm_mode_16_64 3
		.amdhsa_dx10_clamp 1
		.amdhsa_ieee_mode 1
		.amdhsa_fp16_overflow 0
		.amdhsa_workgroup_processor_mode 1
		.amdhsa_memory_ordered 1
		.amdhsa_forward_progress 0
		.amdhsa_shared_vgpr_count 0
		.amdhsa_exception_fp_ieee_invalid_op 0
		.amdhsa_exception_fp_denorm_src 0
		.amdhsa_exception_fp_ieee_div_zero 0
		.amdhsa_exception_fp_ieee_overflow 0
		.amdhsa_exception_fp_ieee_underflow 0
		.amdhsa_exception_fp_ieee_inexact 0
		.amdhsa_exception_int_div_zero 0
	.end_amdhsa_kernel
	.text
.Lfunc_end0:
	.size	bluestein_single_fwd_len1728_dim1_sp_op_CI_CI, .Lfunc_end0-bluestein_single_fwd_len1728_dim1_sp_op_CI_CI
                                        ; -- End function
	.section	.AMDGPU.csdata,"",@progbits
; Kernel info:
; codeLenInByte = 15512
; NumSgprs: 20
; NumVgprs: 230
; ScratchSize: 0
; MemoryBound: 0
; FloatMode: 240
; IeeeMode: 1
; LDSByteSize: 13824 bytes/workgroup (compile time only)
; SGPRBlocks: 2
; VGPRBlocks: 28
; NumSGPRsForWavesPerEU: 20
; NumVGPRsForWavesPerEU: 230
; Occupancy: 6
; WaveLimiterHint : 1
; COMPUTE_PGM_RSRC2:SCRATCH_EN: 0
; COMPUTE_PGM_RSRC2:USER_SGPR: 15
; COMPUTE_PGM_RSRC2:TRAP_HANDLER: 0
; COMPUTE_PGM_RSRC2:TGID_X_EN: 1
; COMPUTE_PGM_RSRC2:TGID_Y_EN: 0
; COMPUTE_PGM_RSRC2:TGID_Z_EN: 0
; COMPUTE_PGM_RSRC2:TIDIG_COMP_CNT: 0
	.text
	.p2alignl 7, 3214868480
	.fill 96, 4, 3214868480
	.type	__hip_cuid_2cbda624649af7a,@object ; @__hip_cuid_2cbda624649af7a
	.section	.bss,"aw",@nobits
	.globl	__hip_cuid_2cbda624649af7a
__hip_cuid_2cbda624649af7a:
	.byte	0                               ; 0x0
	.size	__hip_cuid_2cbda624649af7a, 1

	.ident	"AMD clang version 19.0.0git (https://github.com/RadeonOpenCompute/llvm-project roc-6.4.0 25133 c7fe45cf4b819c5991fe208aaa96edf142730f1d)"
	.section	".note.GNU-stack","",@progbits
	.addrsig
	.addrsig_sym __hip_cuid_2cbda624649af7a
	.amdgpu_metadata
---
amdhsa.kernels:
  - .args:
      - .actual_access:  read_only
        .address_space:  global
        .offset:         0
        .size:           8
        .value_kind:     global_buffer
      - .actual_access:  read_only
        .address_space:  global
        .offset:         8
        .size:           8
        .value_kind:     global_buffer
      - .actual_access:  read_only
        .address_space:  global
        .offset:         16
        .size:           8
        .value_kind:     global_buffer
      - .actual_access:  read_only
        .address_space:  global
        .offset:         24
        .size:           8
        .value_kind:     global_buffer
      - .actual_access:  read_only
        .address_space:  global
        .offset:         32
        .size:           8
        .value_kind:     global_buffer
      - .offset:         40
        .size:           8
        .value_kind:     by_value
      - .address_space:  global
        .offset:         48
        .size:           8
        .value_kind:     global_buffer
      - .address_space:  global
        .offset:         56
        .size:           8
        .value_kind:     global_buffer
      - .address_space:  global
        .offset:         64
        .size:           8
        .value_kind:     global_buffer
      - .address_space:  global
        .offset:         72
        .size:           8
        .value_kind:     global_buffer
      - .offset:         80
        .size:           4
        .value_kind:     by_value
      - .address_space:  global
        .offset:         88
        .size:           8
        .value_kind:     global_buffer
      - .address_space:  global
        .offset:         96
        .size:           8
        .value_kind:     global_buffer
    .group_segment_fixed_size: 13824
    .kernarg_segment_align: 8
    .kernarg_segment_size: 104
    .language:       OpenCL C
    .language_version:
      - 2
      - 0
    .max_flat_workgroup_size: 108
    .name:           bluestein_single_fwd_len1728_dim1_sp_op_CI_CI
    .private_segment_fixed_size: 0
    .sgpr_count:     20
    .sgpr_spill_count: 0
    .symbol:         bluestein_single_fwd_len1728_dim1_sp_op_CI_CI.kd
    .uniform_work_group_size: 1
    .uses_dynamic_stack: false
    .vgpr_count:     230
    .vgpr_spill_count: 0
    .wavefront_size: 32
    .workgroup_processor_mode: 1
amdhsa.target:   amdgcn-amd-amdhsa--gfx1100
amdhsa.version:
  - 1
  - 2
...

	.end_amdgpu_metadata
